;; amdgpu-corpus repo=ROCm/rocFFT kind=compiled arch=gfx1100 opt=O3
	.text
	.amdgcn_target "amdgcn-amd-amdhsa--gfx1100"
	.amdhsa_code_object_version 6
	.protected	fft_rtc_back_len182_factors_13_2_7_wgs_52_tpt_13_dp_ip_CI_unitstride_sbrr_C2R_dirReg ; -- Begin function fft_rtc_back_len182_factors_13_2_7_wgs_52_tpt_13_dp_ip_CI_unitstride_sbrr_C2R_dirReg
	.globl	fft_rtc_back_len182_factors_13_2_7_wgs_52_tpt_13_dp_ip_CI_unitstride_sbrr_C2R_dirReg
	.p2align	8
	.type	fft_rtc_back_len182_factors_13_2_7_wgs_52_tpt_13_dp_ip_CI_unitstride_sbrr_C2R_dirReg,@function
fft_rtc_back_len182_factors_13_2_7_wgs_52_tpt_13_dp_ip_CI_unitstride_sbrr_C2R_dirReg: ; @fft_rtc_back_len182_factors_13_2_7_wgs_52_tpt_13_dp_ip_CI_unitstride_sbrr_C2R_dirReg
; %bb.0:
	s_clause 0x2
	s_load_b128 s[4:7], s[0:1], 0x0
	s_load_b64 s[8:9], s[0:1], 0x50
	s_load_b64 s[10:11], s[0:1], 0x18
	v_mul_u32_u24_e32 v1, 0x13b2, v0
	v_mov_b32_e32 v3, 0
	v_mov_b32_e32 v4, 0
	s_delay_alu instid0(VALU_DEP_3) | instskip(SKIP_1) | instid1(VALU_DEP_2)
	v_lshrrev_b32_e32 v9, 16, v1
	v_mov_b32_e32 v1, 0
	v_lshl_add_u32 v5, s15, 2, v9
	s_delay_alu instid0(VALU_DEP_2) | instskip(SKIP_2) | instid1(VALU_DEP_1)
	v_mov_b32_e32 v6, v1
	s_waitcnt lgkmcnt(0)
	v_cmp_lt_u64_e64 s2, s[6:7], 2
	s_and_b32 vcc_lo, exec_lo, s2
	s_cbranch_vccnz .LBB0_8
; %bb.1:
	s_load_b64 s[2:3], s[0:1], 0x10
	v_mov_b32_e32 v3, 0
	s_add_u32 s12, s10, 8
	v_mov_b32_e32 v4, 0
	s_addc_u32 s13, s11, 0
	s_mov_b64 s[16:17], 1
	s_waitcnt lgkmcnt(0)
	s_add_u32 s14, s2, 8
	s_addc_u32 s15, s3, 0
.LBB0_2:                                ; =>This Inner Loop Header: Depth=1
	s_load_b64 s[18:19], s[14:15], 0x0
                                        ; implicit-def: $vgpr7_vgpr8
	s_mov_b32 s2, exec_lo
	s_waitcnt lgkmcnt(0)
	v_or_b32_e32 v2, s19, v6
	s_delay_alu instid0(VALU_DEP_1)
	v_cmpx_ne_u64_e32 0, v[1:2]
	s_xor_b32 s3, exec_lo, s2
	s_cbranch_execz .LBB0_4
; %bb.3:                                ;   in Loop: Header=BB0_2 Depth=1
	v_cvt_f32_u32_e32 v2, s18
	v_cvt_f32_u32_e32 v7, s19
	s_sub_u32 s2, 0, s18
	s_subb_u32 s20, 0, s19
	s_delay_alu instid0(VALU_DEP_1) | instskip(NEXT) | instid1(VALU_DEP_1)
	v_fmac_f32_e32 v2, 0x4f800000, v7
	v_rcp_f32_e32 v2, v2
	s_waitcnt_depctr 0xfff
	v_mul_f32_e32 v2, 0x5f7ffffc, v2
	s_delay_alu instid0(VALU_DEP_1) | instskip(NEXT) | instid1(VALU_DEP_1)
	v_mul_f32_e32 v7, 0x2f800000, v2
	v_trunc_f32_e32 v7, v7
	s_delay_alu instid0(VALU_DEP_1) | instskip(SKIP_1) | instid1(VALU_DEP_2)
	v_fmac_f32_e32 v2, 0xcf800000, v7
	v_cvt_u32_f32_e32 v7, v7
	v_cvt_u32_f32_e32 v2, v2
	s_delay_alu instid0(VALU_DEP_2) | instskip(NEXT) | instid1(VALU_DEP_2)
	v_mul_lo_u32 v8, s2, v7
	v_mul_hi_u32 v10, s2, v2
	v_mul_lo_u32 v11, s20, v2
	s_delay_alu instid0(VALU_DEP_2) | instskip(SKIP_1) | instid1(VALU_DEP_2)
	v_add_nc_u32_e32 v8, v10, v8
	v_mul_lo_u32 v10, s2, v2
	v_add_nc_u32_e32 v8, v8, v11
	s_delay_alu instid0(VALU_DEP_2) | instskip(NEXT) | instid1(VALU_DEP_2)
	v_mul_hi_u32 v11, v2, v10
	v_mul_lo_u32 v12, v2, v8
	v_mul_hi_u32 v13, v2, v8
	v_mul_hi_u32 v14, v7, v10
	v_mul_lo_u32 v10, v7, v10
	v_mul_hi_u32 v15, v7, v8
	v_mul_lo_u32 v8, v7, v8
	v_add_co_u32 v11, vcc_lo, v11, v12
	v_add_co_ci_u32_e32 v12, vcc_lo, 0, v13, vcc_lo
	s_delay_alu instid0(VALU_DEP_2) | instskip(NEXT) | instid1(VALU_DEP_2)
	v_add_co_u32 v10, vcc_lo, v11, v10
	v_add_co_ci_u32_e32 v10, vcc_lo, v12, v14, vcc_lo
	v_add_co_ci_u32_e32 v11, vcc_lo, 0, v15, vcc_lo
	s_delay_alu instid0(VALU_DEP_2) | instskip(NEXT) | instid1(VALU_DEP_2)
	v_add_co_u32 v8, vcc_lo, v10, v8
	v_add_co_ci_u32_e32 v10, vcc_lo, 0, v11, vcc_lo
	s_delay_alu instid0(VALU_DEP_2) | instskip(NEXT) | instid1(VALU_DEP_2)
	v_add_co_u32 v2, vcc_lo, v2, v8
	v_add_co_ci_u32_e32 v7, vcc_lo, v7, v10, vcc_lo
	s_delay_alu instid0(VALU_DEP_2) | instskip(SKIP_1) | instid1(VALU_DEP_3)
	v_mul_hi_u32 v8, s2, v2
	v_mul_lo_u32 v11, s20, v2
	v_mul_lo_u32 v10, s2, v7
	s_delay_alu instid0(VALU_DEP_1) | instskip(SKIP_1) | instid1(VALU_DEP_2)
	v_add_nc_u32_e32 v8, v8, v10
	v_mul_lo_u32 v10, s2, v2
	v_add_nc_u32_e32 v8, v8, v11
	s_delay_alu instid0(VALU_DEP_2) | instskip(NEXT) | instid1(VALU_DEP_2)
	v_mul_hi_u32 v11, v2, v10
	v_mul_lo_u32 v12, v2, v8
	v_mul_hi_u32 v13, v2, v8
	v_mul_hi_u32 v14, v7, v10
	v_mul_lo_u32 v10, v7, v10
	v_mul_hi_u32 v15, v7, v8
	v_mul_lo_u32 v8, v7, v8
	v_add_co_u32 v11, vcc_lo, v11, v12
	v_add_co_ci_u32_e32 v12, vcc_lo, 0, v13, vcc_lo
	s_delay_alu instid0(VALU_DEP_2) | instskip(NEXT) | instid1(VALU_DEP_2)
	v_add_co_u32 v10, vcc_lo, v11, v10
	v_add_co_ci_u32_e32 v10, vcc_lo, v12, v14, vcc_lo
	v_add_co_ci_u32_e32 v11, vcc_lo, 0, v15, vcc_lo
	s_delay_alu instid0(VALU_DEP_2) | instskip(NEXT) | instid1(VALU_DEP_2)
	v_add_co_u32 v8, vcc_lo, v10, v8
	v_add_co_ci_u32_e32 v10, vcc_lo, 0, v11, vcc_lo
	s_delay_alu instid0(VALU_DEP_2) | instskip(NEXT) | instid1(VALU_DEP_2)
	v_add_co_u32 v2, vcc_lo, v2, v8
	v_add_co_ci_u32_e32 v14, vcc_lo, v7, v10, vcc_lo
	s_delay_alu instid0(VALU_DEP_2) | instskip(SKIP_1) | instid1(VALU_DEP_3)
	v_mul_hi_u32 v15, v5, v2
	v_mad_u64_u32 v[10:11], null, v6, v2, 0
	v_mad_u64_u32 v[7:8], null, v5, v14, 0
	;; [unrolled: 1-line block ×3, first 2 shown]
	s_delay_alu instid0(VALU_DEP_2) | instskip(NEXT) | instid1(VALU_DEP_3)
	v_add_co_u32 v2, vcc_lo, v15, v7
	v_add_co_ci_u32_e32 v7, vcc_lo, 0, v8, vcc_lo
	s_delay_alu instid0(VALU_DEP_2) | instskip(NEXT) | instid1(VALU_DEP_2)
	v_add_co_u32 v2, vcc_lo, v2, v10
	v_add_co_ci_u32_e32 v2, vcc_lo, v7, v11, vcc_lo
	v_add_co_ci_u32_e32 v7, vcc_lo, 0, v13, vcc_lo
	s_delay_alu instid0(VALU_DEP_2) | instskip(NEXT) | instid1(VALU_DEP_2)
	v_add_co_u32 v2, vcc_lo, v2, v12
	v_add_co_ci_u32_e32 v10, vcc_lo, 0, v7, vcc_lo
	s_delay_alu instid0(VALU_DEP_2) | instskip(SKIP_1) | instid1(VALU_DEP_3)
	v_mul_lo_u32 v11, s19, v2
	v_mad_u64_u32 v[7:8], null, s18, v2, 0
	v_mul_lo_u32 v12, s18, v10
	s_delay_alu instid0(VALU_DEP_2) | instskip(NEXT) | instid1(VALU_DEP_2)
	v_sub_co_u32 v7, vcc_lo, v5, v7
	v_add3_u32 v8, v8, v12, v11
	s_delay_alu instid0(VALU_DEP_1) | instskip(NEXT) | instid1(VALU_DEP_1)
	v_sub_nc_u32_e32 v11, v6, v8
	v_subrev_co_ci_u32_e64 v11, s2, s19, v11, vcc_lo
	v_add_co_u32 v12, s2, v2, 2
	s_delay_alu instid0(VALU_DEP_1) | instskip(SKIP_3) | instid1(VALU_DEP_3)
	v_add_co_ci_u32_e64 v13, s2, 0, v10, s2
	v_sub_co_u32 v14, s2, v7, s18
	v_sub_co_ci_u32_e32 v8, vcc_lo, v6, v8, vcc_lo
	v_subrev_co_ci_u32_e64 v11, s2, 0, v11, s2
	v_cmp_le_u32_e32 vcc_lo, s18, v14
	s_delay_alu instid0(VALU_DEP_3) | instskip(SKIP_1) | instid1(VALU_DEP_4)
	v_cmp_eq_u32_e64 s2, s19, v8
	v_cndmask_b32_e64 v14, 0, -1, vcc_lo
	v_cmp_le_u32_e32 vcc_lo, s19, v11
	v_cndmask_b32_e64 v15, 0, -1, vcc_lo
	v_cmp_le_u32_e32 vcc_lo, s18, v7
	;; [unrolled: 2-line block ×3, first 2 shown]
	v_cndmask_b32_e64 v16, 0, -1, vcc_lo
	v_cmp_eq_u32_e32 vcc_lo, s19, v11
	s_delay_alu instid0(VALU_DEP_2) | instskip(SKIP_3) | instid1(VALU_DEP_3)
	v_cndmask_b32_e64 v7, v16, v7, s2
	v_cndmask_b32_e32 v11, v15, v14, vcc_lo
	v_add_co_u32 v14, vcc_lo, v2, 1
	v_add_co_ci_u32_e32 v15, vcc_lo, 0, v10, vcc_lo
	v_cmp_ne_u32_e32 vcc_lo, 0, v11
	s_delay_alu instid0(VALU_DEP_2) | instskip(SKIP_1) | instid1(VALU_DEP_2)
	v_dual_cndmask_b32 v8, v15, v13 :: v_dual_cndmask_b32 v11, v14, v12
	v_cmp_ne_u32_e32 vcc_lo, 0, v7
	v_cndmask_b32_e32 v7, v2, v11, vcc_lo
	s_delay_alu instid0(VALU_DEP_3)
	v_cndmask_b32_e32 v8, v10, v8, vcc_lo
.LBB0_4:                                ;   in Loop: Header=BB0_2 Depth=1
	s_and_not1_saveexec_b32 s2, s3
	s_cbranch_execz .LBB0_6
; %bb.5:                                ;   in Loop: Header=BB0_2 Depth=1
	v_cvt_f32_u32_e32 v2, s18
	s_sub_i32 s3, 0, s18
	s_delay_alu instid0(VALU_DEP_1) | instskip(SKIP_2) | instid1(VALU_DEP_1)
	v_rcp_iflag_f32_e32 v2, v2
	s_waitcnt_depctr 0xfff
	v_mul_f32_e32 v2, 0x4f7ffffe, v2
	v_cvt_u32_f32_e32 v2, v2
	s_delay_alu instid0(VALU_DEP_1) | instskip(NEXT) | instid1(VALU_DEP_1)
	v_mul_lo_u32 v7, s3, v2
	v_mul_hi_u32 v7, v2, v7
	s_delay_alu instid0(VALU_DEP_1) | instskip(NEXT) | instid1(VALU_DEP_1)
	v_add_nc_u32_e32 v2, v2, v7
	v_mul_hi_u32 v2, v5, v2
	s_delay_alu instid0(VALU_DEP_1) | instskip(SKIP_1) | instid1(VALU_DEP_2)
	v_mul_lo_u32 v7, v2, s18
	v_add_nc_u32_e32 v8, 1, v2
	v_sub_nc_u32_e32 v7, v5, v7
	s_delay_alu instid0(VALU_DEP_1) | instskip(SKIP_1) | instid1(VALU_DEP_2)
	v_subrev_nc_u32_e32 v10, s18, v7
	v_cmp_le_u32_e32 vcc_lo, s18, v7
	v_dual_cndmask_b32 v7, v7, v10 :: v_dual_cndmask_b32 v2, v2, v8
	s_delay_alu instid0(VALU_DEP_1) | instskip(NEXT) | instid1(VALU_DEP_2)
	v_cmp_le_u32_e32 vcc_lo, s18, v7
	v_add_nc_u32_e32 v8, 1, v2
	s_delay_alu instid0(VALU_DEP_1)
	v_dual_cndmask_b32 v7, v2, v8 :: v_dual_mov_b32 v8, v1
.LBB0_6:                                ;   in Loop: Header=BB0_2 Depth=1
	s_or_b32 exec_lo, exec_lo, s2
	s_load_b64 s[2:3], s[12:13], 0x0
	s_delay_alu instid0(VALU_DEP_1) | instskip(NEXT) | instid1(VALU_DEP_2)
	v_mul_lo_u32 v2, v8, s18
	v_mul_lo_u32 v12, v7, s19
	v_mad_u64_u32 v[10:11], null, v7, s18, 0
	s_add_u32 s16, s16, 1
	s_addc_u32 s17, s17, 0
	s_add_u32 s12, s12, 8
	s_addc_u32 s13, s13, 0
	;; [unrolled: 2-line block ×3, first 2 shown]
	s_delay_alu instid0(VALU_DEP_1) | instskip(SKIP_1) | instid1(VALU_DEP_2)
	v_add3_u32 v2, v11, v12, v2
	v_sub_co_u32 v10, vcc_lo, v5, v10
	v_sub_co_ci_u32_e32 v2, vcc_lo, v6, v2, vcc_lo
	s_waitcnt lgkmcnt(0)
	s_delay_alu instid0(VALU_DEP_2) | instskip(NEXT) | instid1(VALU_DEP_2)
	v_mul_lo_u32 v11, s3, v10
	v_mul_lo_u32 v2, s2, v2
	v_mad_u64_u32 v[5:6], null, s2, v10, v[3:4]
	v_cmp_ge_u64_e64 s2, s[16:17], s[6:7]
	s_delay_alu instid0(VALU_DEP_1) | instskip(NEXT) | instid1(VALU_DEP_2)
	s_and_b32 vcc_lo, exec_lo, s2
	v_add3_u32 v4, v11, v6, v2
	s_delay_alu instid0(VALU_DEP_3)
	v_mov_b32_e32 v3, v5
	s_cbranch_vccnz .LBB0_9
; %bb.7:                                ;   in Loop: Header=BB0_2 Depth=1
	v_dual_mov_b32 v5, v7 :: v_dual_mov_b32 v6, v8
	s_branch .LBB0_2
.LBB0_8:
	v_dual_mov_b32 v8, v6 :: v_dual_mov_b32 v7, v5
.LBB0_9:
	s_lshl_b64 s[2:3], s[6:7], 3
	v_mul_hi_u32 v5, 0x13b13b14, v0
	s_add_u32 s2, s10, s2
	s_addc_u32 s3, s11, s3
	s_load_b64 s[2:3], s[2:3], 0x0
	s_load_b64 s[0:1], s[0:1], 0x20
	s_waitcnt lgkmcnt(0)
	v_mad_u64_u32 v[1:2], null, s2, v7, v[3:4]
	s_delay_alu instid0(VALU_DEP_2)
	v_mul_u32_u24_e32 v4, 13, v5
	v_mul_lo_u32 v6, s2, v8
	v_mul_lo_u32 v10, s3, v7
	v_cmp_gt_u64_e32 vcc_lo, s[0:1], v[7:8]
	v_mov_b32_e32 v5, 0
	v_sub_nc_u32_e32 v4, v0, v4
	s_delay_alu instid0(VALU_DEP_1) | instskip(SKIP_1) | instid1(VALU_DEP_2)
	v_dual_mov_b32 v84, v4 :: v_dual_and_b32 v3, 3, v9
	v_add3_u32 v2, v10, v2, v6
	v_mul_u32_u24_e32 v6, 0xb7, v3
	s_delay_alu instid0(VALU_DEP_2) | instskip(NEXT) | instid1(VALU_DEP_2)
	v_lshlrev_b64 v[0:1], 4, v[1:2]
	v_lshlrev_b32_e32 v237, 4, v6
	scratch_store_b64 off, v[0:1], off offset:8 ; 8-byte Folded Spill
	s_and_saveexec_b32 s1, vcc_lo
	s_cbranch_execz .LBB0_13
; %bb.10:
	scratch_load_b64 v[0:1], off, off offset:8 ; 8-byte Folded Reload
	v_lshlrev_b64 v[2:3], 4, v[4:5]
	s_mov_b32 s2, exec_lo
	s_waitcnt vmcnt(0)
	v_add_co_u32 v0, s0, s8, v0
	s_delay_alu instid0(VALU_DEP_1) | instskip(NEXT) | instid1(VALU_DEP_2)
	v_add_co_ci_u32_e64 v1, s0, s9, v1, s0
	v_add_co_u32 v2, s0, v0, v2
	s_delay_alu instid0(VALU_DEP_1)
	v_add_co_ci_u32_e64 v3, s0, v1, v3, s0
	s_clause 0xd
	global_load_b128 v[8:11], v[2:3], off
	global_load_b128 v[12:15], v[2:3], off offset:208
	global_load_b128 v[16:19], v[2:3], off offset:416
	;; [unrolled: 1-line block ×13, first 2 shown]
	v_lshlrev_b32_e32 v2, 4, v4
	s_delay_alu instid0(VALU_DEP_1)
	v_add3_u32 v7, 0, v237, v2
	v_dual_mov_b32 v2, v4 :: v_dual_mov_b32 v3, v5
	s_waitcnt vmcnt(13)
	ds_store_b128 v7, v[8:11]
	s_waitcnt vmcnt(12)
	ds_store_b128 v7, v[12:15] offset:208
	s_waitcnt vmcnt(11)
	ds_store_b128 v7, v[16:19] offset:416
	;; [unrolled: 2-line block ×13, first 2 shown]
	v_cmpx_eq_u32_e32 12, v4
	s_cbranch_execz .LBB0_12
; %bb.11:
	global_load_b128 v[8:11], v[0:1], off offset:2912
	v_mov_b32_e32 v2, 12
	v_dual_mov_b32 v3, 0 :: v_dual_mov_b32 v4, 12
	s_waitcnt vmcnt(0)
	ds_store_b128 v7, v[8:11] offset:2720
.LBB0_12:
	s_or_b32 exec_lo, exec_lo, s2
	v_dual_mov_b32 v84, v4 :: v_dual_mov_b32 v5, v3
	v_mov_b32_e32 v4, v2
.LBB0_13:
	s_or_b32 exec_lo, exec_lo, s1
	v_lshl_add_u32 v255, v6, 4, 0
	s_delay_alu instid0(VALU_DEP_3)
	v_lshlrev_b32_e32 v0, 4, v84
	s_waitcnt lgkmcnt(0)
	s_waitcnt_vscnt null, 0x0
	s_barrier
	buffer_gl0_inv
	v_lshlrev_b64 v[4:5], 4, v[4:5]
	v_add_nc_u32_e32 v102, v255, v0
	v_sub_nc_u32_e32 v10, v255, v0
	v_cmp_eq_u32_e64 s0, 0, v84
	s_mov_b32 s2, exec_lo
	ds_load_b64 v[6:7], v102
	ds_load_b64 v[8:9], v10 offset:2912
	scratch_store_b64 off, v[4:5], off      ; 8-byte Folded Spill
	s_waitcnt lgkmcnt(0)
	v_add_f64 v[0:1], v[6:7], v[8:9]
	v_add_f64 v[2:3], v[6:7], -v[8:9]
	v_cmpx_ne_u32_e32 0, v84
	s_xor_b32 s2, exec_lo, s2
	s_cbranch_execz .LBB0_15
; %bb.14:
	scratch_load_b64 v[0:1], off, off       ; 8-byte Folded Reload
	v_add_f64 v[13:14], v[6:7], v[8:9]
	v_add_f64 v[8:9], v[6:7], -v[8:9]
	s_waitcnt vmcnt(0)
	v_add_co_u32 v0, s1, s4, v0
	s_delay_alu instid0(VALU_DEP_1)
	v_add_co_ci_u32_e64 v1, s1, s5, v1, s1
	global_load_b128 v[2:5], v[0:1], off offset:2704
	ds_load_b64 v[0:1], v10 offset:2920
	ds_load_b64 v[11:12], v102 offset:8
	s_waitcnt lgkmcnt(0)
	v_add_f64 v[6:7], v[0:1], v[11:12]
	v_add_f64 v[0:1], v[11:12], -v[0:1]
	s_waitcnt vmcnt(0)
	v_fma_f64 v[11:12], v[8:9], v[4:5], v[13:14]
	v_fma_f64 v[13:14], -v[8:9], v[4:5], v[13:14]
	s_delay_alu instid0(VALU_DEP_3) | instskip(SKIP_1) | instid1(VALU_DEP_4)
	v_fma_f64 v[15:16], v[6:7], v[4:5], -v[0:1]
	v_fma_f64 v[17:18], v[6:7], v[4:5], v[0:1]
	v_fma_f64 v[0:1], -v[6:7], v[2:3], v[11:12]
	s_delay_alu instid0(VALU_DEP_4) | instskip(NEXT) | instid1(VALU_DEP_4)
	v_fma_f64 v[4:5], v[6:7], v[2:3], v[13:14]
	v_fma_f64 v[6:7], v[8:9], v[2:3], v[15:16]
	s_delay_alu instid0(VALU_DEP_4)
	v_fma_f64 v[2:3], v[8:9], v[2:3], v[17:18]
	ds_store_b128 v10, v[4:7] offset:2912
.LBB0_15:
	s_and_not1_saveexec_b32 s1, s2
	s_cbranch_execz .LBB0_17
; %bb.16:
	ds_load_b128 v[4:7], v255 offset:1456
	s_waitcnt lgkmcnt(0)
	v_add_f64 v[4:5], v[4:5], v[4:5]
	v_mul_f64 v[6:7], v[6:7], -2.0
	ds_store_b128 v255, v[4:7] offset:1456
.LBB0_17:
	s_or_b32 exec_lo, exec_lo, s1
	v_mov_b32_e32 v85, 0
	s_add_u32 s1, s4, 0xa90
	s_addc_u32 s2, s5, 0
	s_mov_b32 s38, 0x4267c47c
	s_mov_b32 s22, 0x42a4c3d2
	v_lshlrev_b64 v[4:5], 4, v[84:85]
	s_mov_b32 s40, 0x66966769
	s_mov_b32 s34, 0x2ef20147
	;; [unrolled: 1-line block ×5, first 2 shown]
	v_add_co_u32 v23, s1, s1, v4
	s_delay_alu instid0(VALU_DEP_1)
	v_add_co_ci_u32_e64 v24, s1, s2, v5, s1
	s_mov_b32 s2, 0xe00740e9
	s_mov_b32 s12, 0xebaa3ed8
	;; [unrolled: 1-line block ×3, first 2 shown]
	s_clause 0x1
	global_load_b128 v[4:7], v[23:24], off offset:208
	global_load_b128 v[11:14], v[23:24], off offset:416
	ds_store_b128 v102, v[0:3]
	ds_load_b128 v[0:3], v102 offset:208
	ds_load_b128 v[15:18], v10 offset:2704
	global_load_b128 v[19:22], v[23:24], off offset:624
	s_mov_b32 s10, 0xd0032e0c
	s_mov_b32 s6, 0x93053d00
	;; [unrolled: 1-line block ×18, first 2 shown]
	s_waitcnt lgkmcnt(0)
	v_add_f64 v[8:9], v[0:1], v[15:16]
	v_add_f64 v[25:26], v[17:18], v[2:3]
	v_add_f64 v[15:16], v[0:1], -v[15:16]
	v_add_f64 v[0:1], v[2:3], -v[17:18]
	s_mov_b32 s37, 0x3fe5384d
	s_mov_b32 s31, 0x3fcea1e5
	;; [unrolled: 1-line block ×8, first 2 shown]
	s_waitcnt vmcnt(2)
	s_delay_alu instid0(VALU_DEP_2) | instskip(NEXT) | instid1(VALU_DEP_2)
	v_fma_f64 v[2:3], v[15:16], v[6:7], v[8:9]
	v_fma_f64 v[17:18], v[25:26], v[6:7], v[0:1]
	v_fma_f64 v[8:9], -v[15:16], v[6:7], v[8:9]
	v_fma_f64 v[27:28], v[25:26], v[6:7], -v[0:1]
	s_delay_alu instid0(VALU_DEP_4) | instskip(NEXT) | instid1(VALU_DEP_4)
	v_fma_f64 v[0:1], -v[25:26], v[4:5], v[2:3]
	v_fma_f64 v[2:3], v[15:16], v[4:5], v[17:18]
	s_delay_alu instid0(VALU_DEP_4) | instskip(NEXT) | instid1(VALU_DEP_4)
	v_fma_f64 v[6:7], v[25:26], v[4:5], v[8:9]
	v_fma_f64 v[8:9], v[15:16], v[4:5], v[27:28]
	ds_store_b128 v102, v[0:3] offset:208
	ds_store_b128 v10, v[6:9] offset:2704
	ds_load_b128 v[0:3], v102 offset:416
	ds_load_b128 v[4:7], v10 offset:2496
	global_load_b128 v[15:18], v[23:24], off offset:832
	s_waitcnt lgkmcnt(0)
	v_add_f64 v[8:9], v[0:1], v[4:5]
	v_add_f64 v[25:26], v[6:7], v[2:3]
	v_add_f64 v[27:28], v[0:1], -v[4:5]
	v_add_f64 v[0:1], v[2:3], -v[6:7]
	s_waitcnt vmcnt(2)
	s_delay_alu instid0(VALU_DEP_2) | instskip(NEXT) | instid1(VALU_DEP_2)
	v_fma_f64 v[2:3], v[27:28], v[13:14], v[8:9]
	v_fma_f64 v[4:5], v[25:26], v[13:14], v[0:1]
	v_fma_f64 v[6:7], -v[27:28], v[13:14], v[8:9]
	v_fma_f64 v[8:9], v[25:26], v[13:14], -v[0:1]
	s_delay_alu instid0(VALU_DEP_4) | instskip(NEXT) | instid1(VALU_DEP_4)
	v_fma_f64 v[0:1], -v[25:26], v[11:12], v[2:3]
	v_fma_f64 v[2:3], v[27:28], v[11:12], v[4:5]
	s_delay_alu instid0(VALU_DEP_4) | instskip(NEXT) | instid1(VALU_DEP_4)
	v_fma_f64 v[4:5], v[25:26], v[11:12], v[6:7]
	v_fma_f64 v[6:7], v[27:28], v[11:12], v[8:9]
	ds_store_b128 v102, v[0:3] offset:416
	ds_store_b128 v10, v[4:7] offset:2496
	ds_load_b128 v[0:3], v102 offset:624
	ds_load_b128 v[4:7], v10 offset:2288
	global_load_b128 v[11:14], v[23:24], off offset:1040
	s_waitcnt lgkmcnt(0)
	v_add_f64 v[8:9], v[0:1], v[4:5]
	v_add_f64 v[25:26], v[6:7], v[2:3]
	v_add_f64 v[27:28], v[0:1], -v[4:5]
	v_add_f64 v[0:1], v[2:3], -v[6:7]
	;; [unrolled: 22-line block ×3, first 2 shown]
	s_waitcnt vmcnt(2)
	s_delay_alu instid0(VALU_DEP_2) | instskip(NEXT) | instid1(VALU_DEP_2)
	v_fma_f64 v[2:3], v[25:26], v[17:18], v[8:9]
	v_fma_f64 v[4:5], v[23:24], v[17:18], v[0:1]
	v_fma_f64 v[6:7], -v[25:26], v[17:18], v[8:9]
	v_fma_f64 v[8:9], v[23:24], v[17:18], -v[0:1]
	s_delay_alu instid0(VALU_DEP_4) | instskip(NEXT) | instid1(VALU_DEP_4)
	v_fma_f64 v[0:1], -v[23:24], v[15:16], v[2:3]
	v_fma_f64 v[2:3], v[25:26], v[15:16], v[4:5]
	s_delay_alu instid0(VALU_DEP_4) | instskip(NEXT) | instid1(VALU_DEP_4)
	v_fma_f64 v[4:5], v[23:24], v[15:16], v[6:7]
	v_fma_f64 v[6:7], v[25:26], v[15:16], v[8:9]
	ds_store_b128 v102, v[0:3] offset:832
	ds_store_b128 v10, v[4:7] offset:2080
	ds_load_b128 v[0:3], v102 offset:1040
	ds_load_b128 v[4:7], v10 offset:1872
	s_waitcnt lgkmcnt(0)
	v_add_f64 v[8:9], v[0:1], v[4:5]
	v_add_f64 v[15:16], v[6:7], v[2:3]
	v_add_f64 v[17:18], v[0:1], -v[4:5]
	v_add_f64 v[0:1], v[2:3], -v[6:7]
	s_waitcnt vmcnt(1)
	s_delay_alu instid0(VALU_DEP_2) | instskip(NEXT) | instid1(VALU_DEP_2)
	v_fma_f64 v[2:3], v[17:18], v[13:14], v[8:9]
	v_fma_f64 v[4:5], v[15:16], v[13:14], v[0:1]
	v_fma_f64 v[6:7], -v[17:18], v[13:14], v[8:9]
	v_fma_f64 v[8:9], v[15:16], v[13:14], -v[0:1]
	s_delay_alu instid0(VALU_DEP_4) | instskip(NEXT) | instid1(VALU_DEP_4)
	v_fma_f64 v[0:1], -v[15:16], v[11:12], v[2:3]
	v_fma_f64 v[2:3], v[17:18], v[11:12], v[4:5]
	s_delay_alu instid0(VALU_DEP_4) | instskip(NEXT) | instid1(VALU_DEP_4)
	v_fma_f64 v[4:5], v[15:16], v[11:12], v[6:7]
	v_fma_f64 v[6:7], v[17:18], v[11:12], v[8:9]
	ds_store_b128 v102, v[0:3] offset:1040
	ds_store_b128 v10, v[4:7] offset:1872
	ds_load_b128 v[0:3], v102 offset:1248
	ds_load_b128 v[4:7], v10 offset:1664
	s_waitcnt lgkmcnt(0)
	v_add_f64 v[8:9], v[0:1], v[4:5]
	v_add_f64 v[11:12], v[6:7], v[2:3]
	v_add_f64 v[13:14], v[0:1], -v[4:5]
	v_add_f64 v[0:1], v[2:3], -v[6:7]
	s_waitcnt vmcnt(0)
	s_delay_alu instid0(VALU_DEP_2) | instskip(NEXT) | instid1(VALU_DEP_2)
	v_fma_f64 v[2:3], v[13:14], v[21:22], v[8:9]
	v_fma_f64 v[4:5], v[11:12], v[21:22], v[0:1]
	v_fma_f64 v[6:7], -v[13:14], v[21:22], v[8:9]
	v_fma_f64 v[8:9], v[11:12], v[21:22], -v[0:1]
	s_delay_alu instid0(VALU_DEP_4) | instskip(NEXT) | instid1(VALU_DEP_4)
	v_fma_f64 v[0:1], -v[11:12], v[19:20], v[2:3]
	v_fma_f64 v[2:3], v[13:14], v[19:20], v[4:5]
	s_delay_alu instid0(VALU_DEP_4) | instskip(NEXT) | instid1(VALU_DEP_4)
	v_fma_f64 v[4:5], v[11:12], v[19:20], v[6:7]
	v_fma_f64 v[6:7], v[13:14], v[19:20], v[8:9]
	v_lshl_add_u32 v8, v84, 4, 0
	ds_store_b128 v102, v[0:3] offset:1248
	ds_store_b128 v10, v[4:7] offset:1664
	v_add_nc_u32_e32 v85, v8, v237
	s_waitcnt lgkmcnt(0)
	s_waitcnt_vscnt null, 0x0
	s_barrier
	buffer_gl0_inv
	s_barrier
	buffer_gl0_inv
	ds_load_b128 v[64:67], v85 offset:224
	ds_load_b128 v[52:55], v102
	ds_load_b128 v[0:3], v85 offset:208
	ds_load_b128 v[4:7], v85 offset:432
	s_waitcnt lgkmcnt(0)
	scratch_store_b128 off, v[4:7], off offset:96 ; 16-byte Folded Spill
	v_add_f64 v[4:5], v[52:53], v[64:65]
	v_add_f64 v[6:7], v[54:55], v[66:67]
	ds_load_b128 v[72:75], v85 offset:448
	ds_load_b128 v[8:11], v85 offset:656
	s_waitcnt lgkmcnt(0)
	scratch_store_b128 off, v[8:11], off offset:112 ; 16-byte Folded Spill
	ds_load_b128 v[76:79], v85 offset:672
	ds_load_b128 v[8:11], v85 offset:880
	;; [unrolled: 1-line block ×8, first 2 shown]
	v_add_f64 v[4:5], v[4:5], v[72:73]
	v_add_f64 v[6:7], v[6:7], v[74:75]
	s_waitcnt lgkmcnt(6)
	scratch_store_b128 off, v[8:11], off offset:80 ; 16-byte Folded Spill
	s_waitcnt lgkmcnt(2)
	v_add_f64 v[131:132], v[78:79], -v[70:71]
	s_waitcnt lgkmcnt(1)
	v_add_f64 v[119:120], v[66:67], -v[58:59]
	v_add_f64 v[121:122], v[66:67], v[58:59]
	s_waitcnt lgkmcnt(0)
	v_add_f64 v[127:128], v[74:75], -v[62:63]
	v_add_f64 v[129:130], v[74:75], v[62:63]
	v_add_f64 v[133:134], v[78:79], v[70:71]
	;; [unrolled: 1-line block ×3, first 2 shown]
	v_add_f64 v[64:65], v[64:65], -v[56:57]
	v_add_f64 v[139:140], v[76:77], v[68:69]
	v_add_f64 v[141:142], v[72:73], v[60:61]
	v_add_f64 v[72:73], v[72:73], -v[60:61]
	v_add_f64 v[4:5], v[4:5], v[76:77]
	v_add_f64 v[6:7], v[6:7], v[78:79]
	v_add_f64 v[76:77], v[76:77], -v[68:69]
	v_mul_f64 v[165:166], v[131:132], s[40:41]
	v_mul_f64 v[145:146], v[119:120], s[38:39]
	v_mul_f64 v[147:148], v[119:120], s[22:23]
	v_mul_f64 v[149:150], v[119:120], s[40:41]
	v_mul_f64 v[151:152], v[119:120], s[34:35]
	v_mul_f64 v[153:154], v[119:120], s[18:19]
	v_mul_f64 v[119:120], v[119:120], s[20:21]
	v_mul_f64 v[155:156], v[121:122], s[2:3]
	v_mul_f64 v[157:158], v[121:122], s[14:15]
	v_mul_f64 v[159:160], v[121:122], s[12:13]
	v_mul_f64 v[161:162], v[121:122], s[16:17]
	v_mul_f64 v[163:164], v[121:122], s[10:11]
	v_mul_f64 v[121:122], v[121:122], s[6:7]
	v_mul_f64 v[167:168], v[133:134], s[12:13]
	v_mul_f64 v[169:170], v[127:128], s[34:35]
	v_mul_f64 v[171:172], v[129:130], s[16:17]
	v_mul_f64 v[173:174], v[131:132], s[20:21]
	v_mul_f64 v[175:176], v[133:134], s[6:7]
	v_mul_f64 v[179:180], v[127:128], s[20:21]
	v_mul_f64 v[181:182], v[129:130], s[6:7]
	v_mul_f64 v[183:184], v[131:132], s[42:43]
	v_mul_f64 v[185:186], v[133:134], s[16:17]
	v_mul_f64 v[189:190], v[127:128], s[36:37]
	v_mul_f64 v[191:192], v[129:130], s[10:11]
	v_mul_f64 v[193:194], v[131:132], s[26:27]
	v_mul_f64 v[195:196], v[133:134], s[2:3]
	v_mul_f64 v[199:200], v[127:128], s[24:25]
	v_mul_f64 v[201:202], v[129:130], s[12:13]
	v_mul_f64 v[203:204], v[131:132], s[22:23]
	v_add_f64 v[8:9], v[4:5], v[80:81]
	v_add_f64 v[10:11], v[6:7], v[82:83]
	ds_load_b128 v[103:106], v85 offset:1792
	ds_load_b128 v[4:7], v85 offset:2896
	;; [unrolled: 1-line block ×3, first 2 shown]
	v_mul_f64 v[205:206], v[133:134], s[14:15]
	v_mul_f64 v[131:132], v[131:132], s[18:19]
	v_mul_f64 v[133:134], v[133:134], s[10:11]
	v_fma_f64 v[229:230], v[139:140], s[12:13], v[165:166]
	v_fma_f64 v[209:210], v[143:144], s[2:3], v[145:146]
	v_fma_f64 v[145:146], v[143:144], s[2:3], -v[145:146]
	v_fma_f64 v[211:212], v[143:144], s[14:15], v[147:148]
	v_fma_f64 v[147:148], v[143:144], s[14:15], -v[147:148]
	;; [unrolled: 2-line block ×3, first 2 shown]
	v_fma_f64 v[215:216], v[143:144], s[16:17], v[151:152]
	v_fma_f64 v[217:218], v[64:65], s[28:29], v[157:158]
	;; [unrolled: 1-line block ×5, first 2 shown]
	s_waitcnt lgkmcnt(2)
	v_add_f64 v[96:97], v[90:91], v[103:104]
	s_waitcnt lgkmcnt(1)
	scratch_store_b128 off, v[4:7], off offset:16 ; 16-byte Folded Spill
	ds_load_b128 v[111:114], v85 offset:1344
	ds_load_b128 v[115:118], v85 offset:1568
	v_add_f64 v[94:95], v[92:93], v[105:106]
	v_add_f64 v[78:79], v[90:91], -v[103:104]
	v_add_f64 v[98:99], v[92:93], -v[105:106]
	ds_load_b128 v[48:51], v85 offset:1328
	ds_load_b128 v[40:43], v85 offset:1552
	;; [unrolled: 1-line block ×4, first 2 shown]
	s_waitcnt lgkmcnt(6)
	v_add_f64 v[135:136], v[82:83], -v[109:110]
	v_fma_f64 v[221:222], v[64:65], s[42:43], v[161:162]
	v_fma_f64 v[161:162], v[64:65], s[34:35], v[161:162]
	v_fma_f64 v[223:224], v[64:65], s[36:37], v[163:164]
	v_fma_f64 v[163:164], v[64:65], s[18:19], v[163:164]
	v_fma_f64 v[225:226], v[64:65], s[30:31], v[121:122]
	v_add_f64 v[137:138], v[80:81], v[107:108]
	v_add_f64 v[82:83], v[82:83], v[109:110]
	v_add_f64 v[80:81], v[80:81], -v[107:108]
	v_fma_f64 v[231:232], v[76:77], s[24:25], v[167:168]
	v_add_f64 v[123:124], v[8:9], v[90:91]
	v_add_f64 v[125:126], v[10:11], v[92:93]
	v_fma_f64 v[233:234], v[141:142], s[16:17], v[169:170]
	v_fma_f64 v[235:236], v[72:73], s[42:43], v[171:172]
	;; [unrolled: 1-line block ×3, first 2 shown]
	s_waitcnt lgkmcnt(4)
	v_add_f64 v[66:67], v[111:112], v[115:116]
	v_add_f64 v[90:91], v[113:114], v[117:118]
	v_add_f64 v[74:75], v[111:112], -v[115:116]
	v_add_f64 v[92:93], v[113:114], -v[117:118]
	s_waitcnt lgkmcnt(0)
	scratch_store_b128 off, v[4:7], off offset:48 ; 16-byte Folded Spill
	ds_load_b128 v[4:7], v85 offset:2672
	v_fma_f64 v[239:240], v[76:77], s[30:31], v[175:176]
	v_fma_f64 v[169:170], v[141:142], s[16:17], -v[169:170]
	v_fma_f64 v[171:172], v[72:73], s[34:35], v[171:172]
	v_fma_f64 v[173:174], v[139:140], s[6:7], -v[173:174]
	v_fma_f64 v[175:176], v[76:77], s[20:21], v[175:176]
	v_fma_f64 v[241:242], v[141:142], s[6:7], v[179:180]
	;; [unrolled: 1-line block ×5, first 2 shown]
	v_fma_f64 v[179:180], v[141:142], s[6:7], -v[179:180]
	v_fma_f64 v[181:182], v[72:73], s[20:21], v[181:182]
	v_fma_f64 v[183:184], v[139:140], s[16:17], -v[183:184]
	v_fma_f64 v[249:250], v[139:140], s[2:3], v[193:194]
	v_fma_f64 v[251:252], v[76:77], s[38:39], v[195:196]
	v_fma_f64 v[193:194], v[139:140], s[2:3], -v[193:194]
	v_fma_f64 v[195:196], v[76:77], s[26:27], v[195:196]
	v_fma_f64 v[253:254], v[141:142], s[12:13], v[199:200]
	v_mul_f64 v[177:178], v[135:136], s[36:37]
	v_mul_f64 v[187:188], v[135:136], s[26:27]
	s_waitcnt lgkmcnt(0)
	scratch_store_b128 off, v[4:7], off offset:32 ; 16-byte Folded Spill
	ds_load_b128 v[4:7], v85 offset:2000
	v_mul_f64 v[197:198], v[135:136], s[40:41]
	v_mul_f64 v[207:208], v[135:136], s[30:31]
	v_add_f64 v[209:210], v[52:53], v[209:210]
	v_add_f64 v[145:146], v[52:53], v[145:146]
	;; [unrolled: 1-line block ×6, first 2 shown]
	v_mul_f64 v[123:124], v[127:128], s[22:23]
	v_mul_f64 v[125:126], v[129:130], s[14:15]
	;; [unrolled: 1-line block ×4, first 2 shown]
	v_add_f64 v[147:148], v[52:53], v[147:148]
	v_add_f64 v[157:158], v[54:55], v[157:158]
	;; [unrolled: 1-line block ×12, first 2 shown]
	s_waitcnt lgkmcnt(0)
	scratch_store_b128 off, v[4:7], off offset:128 ; 16-byte Folded Spill
	ds_load_b128 v[4:7], v85 offset:2224
	v_mul_f64 v[12:13], v[82:83], s[2:3]
	v_mul_f64 v[14:15], v[82:83], s[12:13]
	;; [unrolled: 1-line block ×4, first 2 shown]
	v_fma_f64 v[86:87], v[137:138], s[10:11], v[177:178]
	v_fma_f64 v[177:178], v[137:138], s[10:11], -v[177:178]
	v_fma_f64 v[88:89], v[137:138], s[2:3], v[187:188]
	v_fma_f64 v[187:188], v[137:138], s[2:3], -v[187:188]
	v_add_f64 v[111:112], v[111:112], v[115:116]
	v_add_f64 v[113:114], v[113:114], v[117:118]
	v_fma_f64 v[115:116], v[143:144], s[16:17], -v[151:152]
	v_fma_f64 v[117:118], v[143:144], s[10:11], v[153:154]
	v_fma_f64 v[151:152], v[143:144], s[10:11], -v[153:154]
	v_fma_f64 v[153:154], v[143:144], s[6:7], v[119:120]
	;; [unrolled: 2-line block ×3, first 2 shown]
	v_fma_f64 v[155:156], v[64:65], s[38:39], v[155:156]
	v_fma_f64 v[64:65], v[64:65], s[20:21], v[121:122]
	;; [unrolled: 1-line block ×4, first 2 shown]
	v_fma_f64 v[123:124], v[141:142], s[14:15], -v[123:124]
	s_waitcnt lgkmcnt(0)
	scratch_store_b128 off, v[4:7], off offset:64 ; 16-byte Folded Spill
	v_fma_f64 v[4:5], v[137:138], s[12:13], v[197:198]
	v_fma_f64 v[6:7], v[137:138], s[12:13], -v[197:198]
	v_fma_f64 v[197:198], v[137:138], s[6:7], v[207:208]
	v_fma_f64 v[207:208], v[137:138], s[6:7], -v[207:208]
	v_add_f64 v[147:148], v[169:170], v[147:148]
	v_add_f64 v[157:158], v[171:172], v[157:158]
	;; [unrolled: 1-line block ×3, first 2 shown]
	v_fma_f64 v[24:25], v[80:81], s[24:25], v[14:15]
	v_fma_f64 v[14:15], v[80:81], s[40:41], v[14:15]
	;; [unrolled: 1-line block ×6, first 2 shown]
	v_add_f64 v[171:172], v[243:244], v[219:220]
	v_add_f64 v[149:150], v[179:180], v[149:150]
	v_mul_f64 v[179:180], v[98:99], s[24:25]
	v_mul_f64 v[213:214], v[98:99], s[30:31]
	;; [unrolled: 1-line block ×3, first 2 shown]
	s_waitcnt_vscnt null, 0x0
	s_barrier
	buffer_gl0_inv
	v_add_f64 v[103:104], v[111:112], v[103:104]
	v_add_f64 v[105:106], v[113:114], v[105:106]
	v_fma_f64 v[111:112], v[76:77], s[42:43], v[185:186]
	v_fma_f64 v[113:114], v[141:142], s[10:11], v[189:190]
	;; [unrolled: 1-line block ×3, first 2 shown]
	v_fma_f64 v[189:190], v[141:142], s[10:11], -v[189:190]
	v_fma_f64 v[191:192], v[72:73], s[36:37], v[191:192]
	v_add_f64 v[143:144], v[54:55], v[143:144]
	v_add_f64 v[155:156], v[54:55], v[155:156]
	;; [unrolled: 1-line block ×8, first 2 shown]
	v_fma_f64 v[64:65], v[72:73], s[40:41], v[201:202]
	v_fma_f64 v[119:120], v[139:140], s[14:15], v[203:204]
	v_add_f64 v[123:124], v[123:124], v[145:146]
	v_add_f64 v[147:148], v[173:174], v[147:148]
	v_mul_f64 v[173:174], v[94:95], s[14:15]
	v_add_f64 v[169:170], v[245:246], v[169:170]
	v_add_f64 v[157:158], v[175:176], v[157:158]
	v_mul_f64 v[175:176], v[94:95], s[6:7]
	;; [unrolled: 3-line block ×3, first 2 shown]
	v_fma_f64 v[243:244], v[96:97], s[16:17], v[219:220]
	v_fma_f64 v[219:220], v[96:97], s[16:17], -v[219:220]
	v_add_f64 v[103:104], v[103:104], v[107:108]
	v_add_f64 v[105:106], v[105:106], v[109:110]
	v_fma_f64 v[107:108], v[76:77], s[28:29], v[205:206]
	v_fma_f64 v[109:110], v[141:142], s[12:13], -v[199:200]
	v_fma_f64 v[199:200], v[72:73], s[24:25], v[201:202]
	v_fma_f64 v[201:202], v[139:140], s[14:15], -v[203:204]
	v_fma_f64 v[203:204], v[76:77], s[22:23], v[205:206]
	v_fma_f64 v[205:206], v[141:142], s[2:3], v[127:128]
	v_fma_f64 v[127:128], v[141:142], s[2:3], -v[127:128]
	v_fma_f64 v[141:142], v[72:73], s[38:39], v[129:130]
	v_fma_f64 v[129:130], v[72:73], s[26:27], v[129:130]
	;; [unrolled: 1-line block ×4, first 2 shown]
	v_fma_f64 v[131:132], v[139:140], s[10:11], -v[131:132]
	v_fma_f64 v[139:140], v[139:140], s[12:13], -v[165:166]
	v_fma_f64 v[165:166], v[76:77], s[36:37], v[133:134]
	v_fma_f64 v[133:134], v[76:77], s[18:19], v[133:134]
	v_fma_f64 v[76:77], v[76:77], s[40:41], v[167:168]
	v_mul_f64 v[167:168], v[135:136], s[28:29]
	v_mul_f64 v[135:136], v[135:136], s[34:35]
	v_add_f64 v[113:114], v[113:114], v[215:216]
	v_add_f64 v[117:118], v[253:254], v[117:118]
	;; [unrolled: 1-line block ×5, first 2 shown]
	v_mul_f64 v[189:190], v[90:91], s[10:11]
	v_mul_f64 v[191:192], v[92:93], s[28:29]
	v_add_f64 v[88:89], v[88:89], v[169:170]
	v_add_f64 v[147:148], v[177:178], v[147:148]
	;; [unrolled: 1-line block ×5, first 2 shown]
	v_mul_f64 v[163:164], v[94:95], s[12:13]
	v_add_f64 v[153:154], v[205:206], v[153:154]
	v_add_f64 v[52:53], v[127:128], v[52:53]
	;; [unrolled: 1-line block ×5, first 2 shown]
	v_mul_f64 v[127:128], v[94:95], s[10:11]
	v_mul_f64 v[155:156], v[90:91], s[6:7]
	v_add_f64 v[123:124], v[139:140], v[123:124]
	v_fma_f64 v[8:9], v[137:138], s[14:15], v[167:168]
	v_fma_f64 v[10:11], v[137:138], s[14:15], -v[167:168]
	v_fma_f64 v[167:168], v[137:138], s[16:17], v[135:136]
	v_fma_f64 v[135:136], v[137:138], s[16:17], -v[135:136]
	v_mul_f64 v[137:138], v[82:83], s[10:11]
	v_mul_f64 v[82:83], v[82:83], s[16:17]
	v_add_f64 v[113:114], v[249:250], v[113:114]
	v_add_f64 v[117:118], v[119:120], v[117:118]
	;; [unrolled: 1-line block ×5, first 2 shown]
	v_mul_f64 v[119:120], v[92:93], s[34:35]
	v_mul_f64 v[107:108], v[90:91], s[16:17]
	v_mul_f64 v[193:194], v[90:91], s[14:15]
	v_add_f64 v[109:110], v[201:202], v[109:110]
	v_add_f64 v[151:152], v[203:204], v[151:152]
	;; [unrolled: 1-line block ×7, first 2 shown]
	v_fma_f64 v[165:166], v[78:79], s[40:41], v[163:164]
	v_fma_f64 v[131:132], v[78:79], s[28:29], v[173:174]
	;; [unrolled: 1-line block ×14, first 2 shown]
	v_add_f64 v[82:83], v[121:122], v[209:210]
	v_add_f64 v[121:122], v[227:228], v[143:144]
	;; [unrolled: 1-line block ×4, first 2 shown]
	v_mul_f64 v[211:212], v[98:99], s[22:23]
	v_mul_f64 v[217:218], v[98:99], s[26:27]
	;; [unrolled: 1-line block ×3, first 2 shown]
	v_fma_f64 v[227:228], v[96:97], s[12:13], v[179:180]
	v_fma_f64 v[179:180], v[96:97], s[12:13], -v[179:180]
	v_fma_f64 v[235:236], v[96:97], s[6:7], v[213:214]
	v_fma_f64 v[213:214], v[96:97], s[6:7], -v[213:214]
	v_add_f64 v[4:5], v[4:5], v[113:114]
	v_add_f64 v[113:114], v[197:198], v[117:118]
	;; [unrolled: 1-line block ×14, first 2 shown]
	v_fma_f64 v[103:104], v[66:67], s[16:17], v[119:120]
	v_fma_f64 v[105:106], v[74:75], s[42:43], v[107:108]
	v_fma_f64 v[109:110], v[66:67], s[16:17], -v[119:120]
	v_fma_f64 v[115:116], v[74:75], s[34:35], v[107:108]
	v_fma_f64 v[177:178], v[74:75], s[22:23], v[193:194]
	;; [unrolled: 1-line block ×3, first 2 shown]
	v_add_f64 v[22:23], v[22:23], v[157:158]
	v_add_f64 v[137:138], v[137:138], v[171:172]
	;; [unrolled: 1-line block ×7, first 2 shown]
	v_fma_f64 v[233:234], v[96:97], s[14:15], v[211:212]
	v_fma_f64 v[211:212], v[96:97], s[14:15], -v[211:212]
	v_fma_f64 v[241:242], v[96:97], s[2:3], v[217:218]
	v_fma_f64 v[217:218], v[96:97], s[2:3], -v[217:218]
	v_fma_f64 v[100:101], v[96:97], s[10:11], v[98:99]
	v_fma_f64 v[96:97], v[96:97], s[10:11], -v[98:99]
	v_add_f64 v[98:99], v[181:182], v[159:160]
	v_add_f64 v[159:160], v[185:186], v[221:222]
	v_mul_f64 v[181:182], v[94:95], s[2:3]
	v_mul_f64 v[94:95], v[94:95], s[16:17]
	;; [unrolled: 1-line block ×5, first 2 shown]
	v_fma_f64 v[80:81], v[66:67], s[14:15], -v[191:192]
	v_add_f64 v[4:5], v[235:236], v[4:5]
	v_add_f64 v[8:9], v[243:244], v[8:9]
	v_add_f64 v[10:11], v[219:220], v[10:11]
	v_add_f64 v[6:7], v[213:214], v[6:7]
	v_add_f64 v[14:15], v[175:176], v[14:15]
	v_add_f64 v[22:23], v[163:164], v[22:23]
	v_add_f64 v[82:83], v[167:168], v[82:83]
	v_add_f64 v[30:31], v[30:31], v[121:122]
	v_add_f64 v[86:87], v[86:87], v[129:130]
	v_add_f64 v[20:21], v[20:21], v[145:146]
	v_fma_f64 v[129:130], v[74:75], s[36:37], v[189:190]
	v_fma_f64 v[145:146], v[66:67], s[14:15], v[191:192]
	;; [unrolled: 1-line block ×3, first 2 shown]
	v_add_f64 v[98:99], v[111:112], v[98:99]
	v_add_f64 v[159:160], v[251:252], v[159:160]
	v_mul_f64 v[111:112], v[90:91], s[2:3]
	v_mul_f64 v[90:91], v[90:91], s[12:13]
	v_fma_f64 v[139:140], v[78:79], s[38:39], v[181:182]
	v_fma_f64 v[76:77], v[78:79], s[42:43], v[94:95]
	;; [unrolled: 1-line block ×7, first 2 shown]
	v_fma_f64 v[183:184], v[66:67], s[2:3], -v[183:184]
	v_fma_f64 v[121:122], v[66:67], s[10:11], v[185:186]
	v_fma_f64 v[185:186], v[66:67], s[10:11], -v[185:186]
	v_fma_f64 v[107:108], v[66:67], s[12:13], v[92:93]
	v_fma_f64 v[119:120], v[66:67], s[12:13], -v[92:93]
	v_fma_f64 v[125:126], v[66:67], s[6:7], -v[143:144]
	v_add_f64 v[80:81], v[80:81], v[6:7]
	v_add_f64 v[66:67], v[100:101], v[82:83]
	;; [unrolled: 1-line block ×12, first 2 shown]
	v_fma_f64 v[167:168], v[74:75], s[38:39], v[111:112]
	v_fma_f64 v[117:118], v[74:75], s[40:41], v[90:91]
	;; [unrolled: 1-line block ×3, first 2 shown]
	v_add_f64 v[90:91], v[241:242], v[113:114]
	v_add_f64 v[26:27], v[139:140], v[26:27]
	;; [unrolled: 1-line block ×5, first 2 shown]
	v_fma_f64 v[98:99], v[74:75], s[28:29], v[193:194]
	v_fma_f64 v[111:112], v[74:75], s[26:27], v[111:112]
	v_add_f64 v[74:75], v[179:180], v[147:148]
	v_add_f64 v[113:114], v[52:53], v[60:61]
	;; [unrolled: 1-line block ×4, first 2 shown]
	v_mul_u32_u24_e32 v4, 0xd0, v84
	s_delay_alu instid0(VALU_DEP_1)
	v_add3_u32 v4, 0, v4, v237
	v_add_f64 v[52:53], v[199:200], v[66:67]
	v_add_f64 v[60:61], v[127:128], v[72:73]
	;; [unrolled: 1-line block ×27, first 2 shown]
	ds_store_b128 v4, v[60:63] offset:32
	ds_store_b128 v4, v[68:71] offset:48
	;; [unrolled: 1-line block ×10, first 2 shown]
	ds_store_b128 v4, v[56:59]
	ds_store_b128 v4, v[52:55] offset:16
	ds_store_b128 v4, v[111:114] offset:192
	s_and_saveexec_b32 s1, s0
	s_cbranch_execz .LBB0_19
; %bb.18:
	s_clause 0x7
	scratch_load_b128 v[74:77], off, off offset:96
	scratch_load_b128 v[250:253], off, off offset:64
	;; [unrolled: 1-line block ×8, first 2 shown]
	v_add_f64 v[52:53], v[42:43], v[38:39]
	v_add_f64 v[62:63], v[42:43], -v[38:39]
	v_add_f64 v[58:59], v[40:41], -v[36:37]
	v_add_f64 v[26:27], v[40:41], v[36:37]
	s_delay_alu instid0(VALU_DEP_3) | instskip(NEXT) | instid1(VALU_DEP_3)
	v_mul_f64 v[163:164], v[62:63], s[24:25]
	v_mul_f64 v[167:168], v[58:59], s[34:35]
	;; [unrolled: 1-line block ×4, first 2 shown]
	s_waitcnt vmcnt(7)
	v_add_f64 v[4:5], v[2:3], v[76:77]
	v_add_f64 v[6:7], v[0:1], v[74:75]
	s_waitcnt vmcnt(4)
	v_add_f64 v[18:19], v[129:130], -v[248:249]
	v_add_f64 v[10:11], v[127:128], -v[246:247]
	s_waitcnt vmcnt(1)
	v_add_f64 v[14:15], v[74:75], -v[238:239]
	v_add_f64 v[20:21], v[76:77], -v[240:241]
	;; [unrolled: 1-line block ×3, first 2 shown]
	v_add_f64 v[28:29], v[72:73], v[244:245]
	v_add_f64 v[30:31], v[76:77], v[240:241]
	;; [unrolled: 1-line block ×4, first 2 shown]
	v_add_f64 v[8:9], v[44:45], -v[250:251]
	v_add_f64 v[16:17], v[46:47], -v[252:253]
	s_waitcnt vmcnt(0)
	v_add_f64 v[60:61], v[48:49], -v[32:33]
	v_add_f64 v[54:55], v[50:51], v[34:35]
	v_add_f64 v[24:25], v[129:130], v[248:249]
	;; [unrolled: 1-line block ×3, first 2 shown]
	v_add_f64 v[64:65], v[50:51], -v[34:35]
	v_add_f64 v[22:23], v[46:47], v[252:253]
	v_add_f64 v[66:67], v[44:45], v[250:251]
	v_add_f64 v[4:5], v[4:5], v[72:73]
	v_add_f64 v[6:7], v[6:7], v[70:71]
	v_add_f64 v[72:73], v[72:73], -v[244:245]
	v_mul_f64 v[117:118], v[18:19], s[26:27]
	v_mul_f64 v[82:83], v[14:15], s[20:21]
	;; [unrolled: 1-line block ×11, first 2 shown]
	v_add_f64 v[70:71], v[70:71], v[242:243]
	v_mul_f64 v[78:79], v[10:11], s[18:19]
	v_mul_f64 v[80:81], v[12:13], s[26:27]
	;; [unrolled: 1-line block ×23, first 2 shown]
	v_add_f64 v[4:5], v[4:5], v[129:130]
	v_add_f64 v[6:7], v[6:7], v[127:128]
	v_mul_f64 v[127:128], v[14:15], s[40:41]
	v_mul_f64 v[14:15], v[14:15], s[38:39]
	;; [unrolled: 1-line block ×5, first 2 shown]
	v_fma_f64 v[181:182], v[30:31], s[6:7], v[82:83]
	v_fma_f64 v[183:184], v[74:75], s[6:7], -v[90:91]
	v_fma_f64 v[82:83], v[30:31], s[6:7], -v[82:83]
	v_fma_f64 v[90:91], v[74:75], s[6:7], v[90:91]
	v_fma_f64 v[191:192], v[30:31], s[10:11], v[98:99]
	v_fma_f64 v[197:198], v[74:75], s[10:11], -v[105:106]
	v_fma_f64 v[98:99], v[30:31], s[10:11], -v[98:99]
	v_fma_f64 v[105:106], v[74:75], s[10:11], v[105:106]
	v_fma_f64 v[209:210], v[68:69], s[2:3], -v[117:118]
	v_fma_f64 v[211:212], v[74:75], s[16:17], -v[119:120]
	;; [unrolled: 3-line block ×3, first 2 shown]
	v_fma_f64 v[147:148], v[74:75], s[14:15], v[147:148]
	v_fma_f64 v[219:220], v[74:75], s[2:3], -v[20:21]
	v_fma_f64 v[20:21], v[74:75], s[2:3], v[20:21]
	v_mul_f64 v[129:130], v[16:17], s[26:27]
	v_mul_f64 v[145:146], v[18:19], s[20:21]
	;; [unrolled: 1-line block ×8, first 2 shown]
	v_fma_f64 v[205:206], v[30:31], s[16:17], v[113:114]
	v_fma_f64 v[113:114], v[30:31], s[16:17], -v[113:114]
	v_mul_f64 v[72:73], v[72:73], s[22:23]
	v_fma_f64 v[177:178], v[24:25], s[10:11], v[78:79]
	v_fma_f64 v[179:180], v[28:29], s[2:3], v[80:81]
	v_fma_f64 v[78:79], v[24:25], s[10:11], -v[78:79]
	v_fma_f64 v[80:81], v[28:29], s[2:3], -v[80:81]
	v_add_f64 v[4:5], v[4:5], v[46:47]
	v_add_f64 v[6:7], v[6:7], v[44:45]
	v_fma_f64 v[187:188], v[24:25], s[14:15], v[94:95]
	v_fma_f64 v[217:218], v[30:31], s[2:3], v[14:15]
	v_fma_f64 v[14:15], v[30:31], s[2:3], -v[14:15]
	v_fma_f64 v[189:190], v[28:29], s[12:13], v[96:97]
	v_fma_f64 v[94:95], v[24:25], s[14:15], -v[94:95]
	v_fma_f64 v[96:97], v[28:29], s[12:13], -v[96:97]
	v_fma_f64 v[201:202], v[24:25], s[2:3], v[109:110]
	v_fma_f64 v[109:110], v[24:25], s[2:3], -v[109:110]
	v_fma_f64 v[221:222], v[28:29], s[6:7], v[125:126]
	;; [unrolled: 2-line block ×4, first 2 shown]
	v_fma_f64 v[10:11], v[24:25], s[12:13], -v[10:11]
	v_add_f64 v[183:184], v[0:1], v[183:184]
	v_add_f64 v[82:83], v[2:3], v[82:83]
	;; [unrolled: 1-line block ×12, first 2 shown]
	v_fma_f64 v[175:176], v[22:23], s[14:15], v[76:77]
	v_fma_f64 v[44:45], v[66:67], s[14:15], -v[86:87]
	v_fma_f64 v[46:47], v[68:69], s[10:11], -v[88:89]
	;; [unrolled: 1-line block ×3, first 2 shown]
	v_fma_f64 v[86:87], v[66:67], s[14:15], v[86:87]
	v_fma_f64 v[88:89], v[68:69], s[10:11], v[88:89]
	v_fma_f64 v[185:186], v[22:23], s[6:7], v[92:93]
	v_fma_f64 v[193:194], v[66:67], s[6:7], -v[100:101]
	v_fma_f64 v[195:196], v[68:69], s[14:15], -v[103:104]
	;; [unrolled: 1-line block ×3, first 2 shown]
	v_add_f64 v[4:5], v[4:5], v[50:51]
	v_add_f64 v[6:7], v[6:7], v[48:49]
	v_fma_f64 v[48:49], v[68:69], s[2:3], v[117:118]
	v_fma_f64 v[50:51], v[74:75], s[16:17], v[119:120]
	;; [unrolled: 1-line block ×3, first 2 shown]
	v_fma_f64 v[119:120], v[74:75], s[12:13], -v[133:134]
	v_fma_f64 v[127:128], v[30:31], s[12:13], -v[127:128]
	v_fma_f64 v[133:134], v[74:75], s[12:13], v[133:134]
	v_fma_f64 v[74:75], v[24:25], s[16:17], v[123:124]
	v_fma_f64 v[123:124], v[24:25], s[16:17], -v[123:124]
	v_fma_f64 v[24:25], v[70:71], s[2:3], -v[149:150]
	v_fma_f64 v[149:150], v[70:71], s[2:3], v[149:150]
	v_fma_f64 v[100:101], v[66:67], s[6:7], v[100:101]
	;; [unrolled: 1-line block ×5, first 2 shown]
	v_fma_f64 v[207:208], v[66:67], s[12:13], -v[115:116]
	v_fma_f64 v[107:108], v[22:23], s[12:13], -v[107:108]
	;; [unrolled: 1-line block ×3, first 2 shown]
	v_fma_f64 v[115:116], v[66:67], s[12:13], v[115:116]
	v_fma_f64 v[30:31], v[22:23], s[2:3], v[121:122]
	v_fma_f64 v[223:224], v[66:67], s[2:3], -v[129:130]
	v_fma_f64 v[225:226], v[68:69], s[16:17], -v[131:132]
	;; [unrolled: 1-line block ×3, first 2 shown]
	v_fma_f64 v[129:130], v[66:67], s[2:3], v[129:130]
	v_fma_f64 v[131:132], v[68:69], s[16:17], v[131:132]
	v_fma_f64 v[227:228], v[22:23], s[10:11], v[135:136]
	v_fma_f64 v[231:232], v[28:29], s[16:17], v[139:140]
	v_fma_f64 v[135:136], v[22:23], s[10:11], -v[135:136]
	v_fma_f64 v[233:234], v[22:23], s[16:17], v[8:9]
	v_fma_f64 v[8:9], v[22:23], s[16:17], -v[8:9]
	v_fma_f64 v[22:23], v[66:67], s[10:11], -v[143:144]
	v_add_f64 v[181:182], v[2:3], v[181:182]
	v_add_f64 v[205:206], v[2:3], v[205:206]
	;; [unrolled: 1-line block ×8, first 2 shown]
	v_fma_f64 v[42:43], v[70:71], s[12:13], v[151:152]
	v_add_f64 v[50:51], v[0:1], v[50:51]
	v_fma_f64 v[40:41], v[70:71], s[12:13], -v[151:152]
	v_add_f64 v[119:120], v[0:1], v[119:120]
	v_add_f64 v[127:128], v[2:3], v[127:128]
	;; [unrolled: 1-line block ×4, first 2 shown]
	v_fma_f64 v[20:21], v[28:29], s[16:17], -v[139:140]
	v_fma_f64 v[151:152], v[70:71], s[10:11], -v[153:154]
	v_add_f64 v[117:118], v[2:3], v[117:118]
	v_add_f64 v[2:3], v[2:3], v[14:15]
	v_fma_f64 v[14:15], v[68:69], s[6:7], -v[145:146]
	v_fma_f64 v[139:140], v[66:67], s[10:11], v[143:144]
	v_fma_f64 v[143:144], v[70:71], s[10:11], v[153:154]
	;; [unrolled: 1-line block ×4, first 2 shown]
	v_fma_f64 v[12:13], v[28:29], s[14:15], -v[12:13]
	v_fma_f64 v[28:29], v[66:67], s[16:17], -v[16:17]
	v_fma_f64 v[16:17], v[66:67], s[16:17], v[16:17]
	v_fma_f64 v[66:67], v[68:69], s[12:13], -v[18:19]
	v_fma_f64 v[18:19], v[68:69], s[12:13], v[18:19]
	;; [unrolled: 2-line block ×3, first 2 shown]
	v_add_f64 v[24:25], v[24:25], v[183:184]
	v_add_f64 v[90:91], v[149:150], v[90:91]
	;; [unrolled: 1-line block ×4, first 2 shown]
	v_mul_f64 v[161:162], v[60:61], s[34:35]
	v_mul_f64 v[165:166], v[64:65], s[34:35]
	;; [unrolled: 1-line block ×3, first 2 shown]
	v_add_f64 v[179:180], v[179:180], v[181:182]
	v_add_f64 v[203:204], v[203:204], v[205:206]
	;; [unrolled: 1-line block ×4, first 2 shown]
	v_mul_f64 v[173:174], v[64:65], s[26:27]
	v_mul_f64 v[82:83], v[64:65], s[30:31]
	v_add_f64 v[4:5], v[4:5], v[38:39]
	v_fma_f64 v[38:39], v[70:71], s[16:17], v[157:158]
	v_add_f64 v[6:7], v[6:7], v[36:37]
	v_fma_f64 v[36:37], v[70:71], s[16:17], -v[157:158]
	v_fma_f64 v[157:158], v[70:71], s[14:15], -v[72:73]
	v_fma_f64 v[70:71], v[70:71], s[14:15], v[72:73]
	v_add_f64 v[42:43], v[42:43], v[105:106]
	v_add_f64 v[125:126], v[125:126], v[127:128]
	;; [unrolled: 1-line block ×6, first 2 shown]
	v_mul_f64 v[191:192], v[60:61], s[22:23]
	v_mul_f64 v[98:99], v[64:65], s[22:23]
	;; [unrolled: 1-line block ×3, first 2 shown]
	v_add_f64 v[50:51], v[143:144], v[50:51]
	v_mul_f64 v[113:114], v[64:65], s[24:25]
	v_add_f64 v[153:154], v[153:154], v[217:218]
	v_add_f64 v[2:3], v[12:13], v[2:3]
	v_mul_f64 v[64:65], v[64:65], s[18:19]
	v_mul_f64 v[181:182], v[60:61], s[30:31]
	v_mul_f64 v[60:61], v[60:61], s[18:19]
	v_mul_f64 v[105:106], v[58:59], s[26:27]
	v_add_f64 v[68:69], v[68:69], v[119:120]
	v_add_f64 v[133:134], v[155:156], v[133:134]
	;; [unrolled: 1-line block ×7, first 2 shown]
	v_mul_f64 v[211:212], v[62:63], s[26:27]
	v_fma_f64 v[221:222], v[54:55], s[16:17], v[161:162]
	v_add_f64 v[177:178], v[177:178], v[179:180]
	v_add_f64 v[90:91], v[201:202], v[203:204]
	;; [unrolled: 1-line block ×3, first 2 shown]
	v_fma_f64 v[155:156], v[56:57], s[16:17], -v[165:166]
	v_fma_f64 v[161:162], v[54:55], s[16:17], -v[161:162]
	v_fma_f64 v[165:166], v[56:57], s[16:17], v[165:166]
	v_add_f64 v[4:5], v[4:5], v[34:35]
	v_add_f64 v[38:39], v[38:39], v[147:148]
	;; [unrolled: 1-line block ×11, first 2 shown]
	v_fma_f64 v[147:148], v[54:55], s[2:3], v[169:170]
	v_fma_f64 v[231:232], v[56:57], s[2:3], -v[173:174]
	v_fma_f64 v[34:35], v[54:55], s[2:3], -v[169:170]
	v_fma_f64 v[157:158], v[56:57], s[2:3], v[173:174]
	v_add_f64 v[48:49], v[48:49], v[50:51]
	v_add_f64 v[50:51], v[74:75], v[117:118]
	;; [unrolled: 1-line block ×4, first 2 shown]
	v_fma_f64 v[173:174], v[56:57], s[6:7], -v[82:83]
	v_fma_f64 v[82:83], v[56:57], s[6:7], v[82:83]
	v_fma_f64 v[117:118], v[56:57], s[12:13], -v[113:114]
	v_fma_f64 v[123:124], v[54:55], s[12:13], -v[205:206]
	v_add_f64 v[68:69], v[225:226], v[68:69]
	v_add_f64 v[109:110], v[131:132], v[133:134]
	v_fma_f64 v[113:114], v[56:57], s[12:13], v[113:114]
	v_fma_f64 v[131:132], v[56:57], s[10:11], -v[64:65]
	v_add_f64 v[24:25], v[44:45], v[24:25]
	v_add_f64 v[44:45], v[76:77], v[46:47]
	;; [unrolled: 1-line block ×3, first 2 shown]
	v_mul_f64 v[149:150], v[58:59], s[18:19]
	v_mul_f64 v[197:198], v[62:63], s[18:19]
	v_add_f64 v[46:47], v[86:87], v[78:79]
	v_add_f64 v[78:79], v[199:200], v[90:91]
	v_mul_f64 v[72:73], v[58:59], s[28:29]
	v_mul_f64 v[183:184], v[62:63], s[28:29]
	;; [unrolled: 1-line block ×4, first 2 shown]
	v_add_f64 v[4:5], v[4:5], v[252:253]
	v_add_f64 v[38:39], v[145:146], v[38:39]
	v_add_f64 v[6:7], v[6:7], v[250:251]
	v_add_f64 v[14:15], v[14:15], v[36:37]
	v_add_f64 v[36:37], v[235:236], v[153:154]
	v_add_f64 v[0:1], v[18:19], v[0:1]
	v_add_f64 v[10:11], v[66:67], v[12:13]
	v_fma_f64 v[18:19], v[56:57], s[14:15], -v[98:99]
	v_fma_f64 v[66:67], v[54:55], s[14:15], -v[191:192]
	v_fma_f64 v[98:99], v[56:57], s[14:15], v[98:99]
	v_fma_f64 v[56:57], v[56:57], s[10:11], v[64:65]
	v_add_f64 v[64:65], v[185:186], v[80:81]
	v_add_f64 v[88:89], v[121:122], v[103:104]
	;; [unrolled: 1-line block ×3, first 2 shown]
	v_fma_f64 v[169:170], v[54:55], s[6:7], v[181:182]
	v_fma_f64 v[181:182], v[54:55], s[6:7], -v[181:182]
	v_fma_f64 v[12:13], v[54:55], s[14:15], v[191:192]
	v_fma_f64 v[111:112], v[54:55], s[12:13], v[205:206]
	v_fma_f64 v[125:126], v[54:55], s[10:11], v[60:61]
	v_fma_f64 v[54:55], v[54:55], s[10:11], -v[60:61]
	v_add_f64 v[60:61], v[175:176], v[177:178]
	v_add_f64 v[86:87], v[107:108], v[96:97]
	;; [unrolled: 1-line block ×11, first 2 shown]
	v_fma_f64 v[32:33], v[52:53], s[16:17], -v[167:168]
	v_fma_f64 v[100:101], v[52:53], s[2:3], -v[105:106]
	v_fma_f64 v[103:104], v[26:27], s[2:3], v[211:212]
	v_add_f64 v[34:35], v[34:35], v[76:77]
	v_fma_f64 v[92:93], v[26:27], s[10:11], v[197:198]
	v_fma_f64 v[143:144], v[52:53], s[12:13], v[159:160]
	v_fma_f64 v[127:128], v[26:27], s[12:13], -v[163:164]
	v_add_f64 v[4:5], v[4:5], v[248:249]
	v_add_f64 v[38:39], v[139:140], v[38:39]
	;; [unrolled: 1-line block ×9, first 2 shown]
	v_fma_f64 v[28:29], v[52:53], s[10:11], -v[149:150]
	v_fma_f64 v[159:160], v[52:53], s[12:13], -v[159:160]
	v_add_f64 v[44:45], v[147:148], v[64:65]
	v_add_f64 v[64:65], v[66:67], v[88:89]
	;; [unrolled: 1-line block ×3, first 2 shown]
	v_fma_f64 v[163:164], v[26:27], s[12:13], v[163:164]
	v_fma_f64 v[141:142], v[52:53], s[16:17], v[167:168]
	v_fma_f64 v[119:120], v[26:27], s[16:17], -v[171:172]
	v_fma_f64 v[70:71], v[26:27], s[16:17], v[171:172]
	v_fma_f64 v[167:168], v[52:53], s[14:15], v[72:73]
	v_fma_f64 v[171:172], v[26:27], s[14:15], -v[183:184]
	v_fma_f64 v[72:73], v[52:53], s[14:15], -v[72:73]
	v_fma_f64 v[183:184], v[26:27], s[14:15], v[183:184]
	v_fma_f64 v[36:37], v[52:53], s[10:11], v[149:150]
	v_fma_f64 v[74:75], v[26:27], s[10:11], -v[197:198]
	v_add_f64 v[76:77], v[98:99], v[90:91]
	v_fma_f64 v[94:95], v[52:53], s[2:3], v[105:106]
	v_fma_f64 v[96:97], v[26:27], s[2:3], -v[211:212]
	v_fma_f64 v[105:106], v[52:53], s[6:7], v[58:59]
	v_fma_f64 v[107:108], v[26:27], s[6:7], -v[62:63]
	v_fma_f64 v[52:53], v[52:53], s[6:7], -v[58:59]
	v_fma_f64 v[58:59], v[26:27], s[6:7], v[62:63]
	v_add_f64 v[10:11], v[221:222], v[60:61]
	v_add_f64 v[26:27], v[165:166], v[46:47]
	;; [unrolled: 1-line block ×45, first 2 shown]
	ds_store_b128 v255, v[32:35] offset:2736
	ds_store_b128 v255, v[28:31] offset:2752
	;; [unrolled: 1-line block ×13, first 2 shown]
.LBB0_19:
	s_or_b32 exec_lo, exec_lo, s1
	s_waitcnt lgkmcnt(0)
	s_barrier
	buffer_gl0_inv
	scratch_load_b64 v[0:1], off, off       ; 8-byte Folded Reload
	v_add_nc_u16 v2, v84, 26
	v_add_nc_u16 v3, v84, 39
	;; [unrolled: 1-line block ×5, first 2 shown]
	v_and_b32_e32 v4, 0xff, v2
	v_and_b32_e32 v7, 0xff, v3
	;; [unrolled: 1-line block ×5, first 2 shown]
	v_mul_lo_u16 v4, 0x4f, v4
	v_mul_lo_u16 v7, 0x4f, v7
	;; [unrolled: 1-line block ×5, first 2 shown]
	v_lshrrev_b16 v4, 10, v4
	v_lshrrev_b16 v7, 10, v7
	;; [unrolled: 1-line block ×4, first 2 shown]
	s_mov_b32 s2, 0x36b3c0b5
	v_mul_lo_u16 v4, v4, 13
	s_mov_b32 s3, 0x3fac98ee
	v_mul_lo_u16 v9, v9, 13
	v_mul_lo_u16 v10, v10, 13
	s_mov_b32 s6, 0x429ad128
	v_sub_nc_u16 v2, v2, v4
	v_mul_lo_u16 v4, v7, 13
	v_lshrrev_b16 v7, 10, v11
	v_sub_nc_u16 v5, v5, v9
	v_sub_nc_u16 v6, v6, v10
	v_and_b32_e32 v2, 0xff, v2
	v_sub_nc_u16 v3, v3, v4
	v_mul_lo_u16 v4, v7, 13
	v_and_b32_e32 v5, 0xff, v5
	s_mov_b32 s7, 0xbfebfeb5
	v_lshlrev_b32_e32 v72, 4, v2
	v_and_b32_e32 v7, 0xff, v3
	v_sub_nc_u16 v4, v8, v4
	v_and_b32_e32 v8, 0xff, v6
	v_lshlrev_b32_e32 v74, 4, v5
	s_mov_b32 s10, 0xaaaaaaaa
	v_lshlrev_b32_e32 v73, 4, v7
	v_and_b32_e32 v12, 0xff, v4
	global_load_b128 v[4:7], v72, s[4:5]
	v_lshlrev_b32_e32 v75, 4, v8
	s_mov_b32 s12, 0xb247c609
	global_load_b128 v[8:11], v73, s[4:5]
	v_lshlrev_b32_e32 v76, 4, v12
	s_mov_b32 s11, 0xbff2aaaa
	s_mov_b32 s13, 0xbfd5d0dc
	;; [unrolled: 1-line block ×4, first 2 shown]
	s_waitcnt vmcnt(2)
	v_add_co_u32 v0, s0, s4, v0
	s_delay_alu instid0(VALU_DEP_1)
	v_add_co_ci_u32_e64 v1, s0, s5, v1, s0
	s_mov_b32 s0, 0x37e14327
	s_mov_b32 s1, 0x3fe948f6
	s_clause 0x3
	global_load_b128 v[0:3], v[0:1], off
	global_load_b128 v[12:15], v74, s[4:5]
	global_load_b128 v[16:19], v75, s[4:5]
	;; [unrolled: 1-line block ×3, first 2 shown]
	ds_load_b128 v[24:27], v85 offset:1456
	ds_load_b128 v[28:31], v85 offset:1664
	;; [unrolled: 1-line block ×8, first 2 shown]
	s_waitcnt vmcnt(5) lgkmcnt(5)
	v_mul_f64 v[62:63], v[34:35], v[6:7]
	v_mul_f64 v[6:7], v[32:33], v[6:7]
	s_waitcnt vmcnt(4) lgkmcnt(4)
	v_mul_f64 v[64:65], v[38:39], v[10:11]
	v_mul_f64 v[10:11], v[36:37], v[10:11]
	s_delay_alu instid0(VALU_DEP_4) | instskip(NEXT) | instid1(VALU_DEP_4)
	v_fma_f64 v[32:33], v[32:33], v[4:5], v[62:63]
	v_fma_f64 v[34:35], v[34:35], v[4:5], -v[6:7]
	s_delay_alu instid0(VALU_DEP_4) | instskip(NEXT) | instid1(VALU_DEP_4)
	v_fma_f64 v[36:37], v[36:37], v[8:9], v[64:65]
	v_fma_f64 v[38:39], v[38:39], v[8:9], -v[10:11]
	s_waitcnt vmcnt(2) lgkmcnt(3)
	v_mul_f64 v[66:67], v[42:43], v[14:15]
	v_mul_f64 v[56:57], v[26:27], v[2:3]
	;; [unrolled: 1-line block ×6, first 2 shown]
	s_waitcnt vmcnt(1) lgkmcnt(2)
	v_mul_f64 v[68:69], v[46:47], v[18:19]
	v_mul_f64 v[18:19], v[44:45], v[18:19]
	s_waitcnt vmcnt(0) lgkmcnt(1)
	v_mul_f64 v[70:71], v[50:51], v[22:23]
	v_mul_f64 v[22:23], v[48:49], v[22:23]
	v_fma_f64 v[40:41], v[40:41], v[12:13], v[66:67]
	v_fma_f64 v[24:25], v[24:25], v[0:1], v[56:57]
	v_fma_f64 v[26:27], v[26:27], v[0:1], -v[58:59]
	v_fma_f64 v[28:29], v[28:29], v[0:1], v[60:61]
	v_fma_f64 v[30:31], v[30:31], v[0:1], -v[2:3]
	v_fma_f64 v[42:43], v[42:43], v[12:13], -v[14:15]
	v_fma_f64 v[44:45], v[44:45], v[16:17], v[68:69]
	v_fma_f64 v[46:47], v[46:47], v[16:17], -v[18:19]
	v_fma_f64 v[48:49], v[48:49], v[20:21], v[70:71]
	v_fma_f64 v[50:51], v[50:51], v[20:21], -v[22:23]
	ds_load_b128 v[0:3], v102
	ds_load_b128 v[4:7], v85 offset:208
	ds_load_b128 v[8:11], v85 offset:416
	;; [unrolled: 1-line block ×5, first 2 shown]
	v_mul_u32_u24_e32 v56, 6, v84
	v_add3_u32 v57, 0, v72, v237
	s_waitcnt lgkmcnt(0)
	s_barrier
	buffer_gl0_inv
	v_lshlrev_b32_e32 v56, 4, v56
	v_add3_u32 v58, 0, v73, v237
	v_add3_u32 v59, 0, v74, v237
	;; [unrolled: 1-line block ×4, first 2 shown]
	v_add_f64 v[32:33], v[8:9], -v[32:33]
	v_add_f64 v[34:35], v[10:11], -v[34:35]
	;; [unrolled: 1-line block ×14, first 2 shown]
	v_fma_f64 v[8:9], v[8:9], 2.0, -v[32:33]
	v_fma_f64 v[10:11], v[10:11], 2.0, -v[34:35]
	;; [unrolled: 1-line block ×14, first 2 shown]
	ds_store_b128 v85, v[0:3]
	ds_store_b128 v85, v[24:27] offset:208
	ds_store_b128 v85, v[4:7] offset:416
	;; [unrolled: 1-line block ×13, first 2 shown]
	s_waitcnt lgkmcnt(0)
	s_barrier
	buffer_gl0_inv
	s_clause 0xb
	global_load_b128 v[0:3], v56, s[4:5] offset:208
	global_load_b128 v[4:7], v56, s[4:5] offset:224
	;; [unrolled: 1-line block ×12, first 2 shown]
	ds_load_b128 v[48:51], v85 offset:416
	ds_load_b128 v[52:55], v85 offset:832
	;; [unrolled: 1-line block ×12, first 2 shown]
	s_mov_b32 s4, 0xe976ee23
	s_mov_b32 s5, 0x3fe11646
	s_waitcnt vmcnt(11) lgkmcnt(11)
	v_mul_f64 v[86:87], v[50:51], v[2:3]
	v_mul_f64 v[2:3], v[48:49], v[2:3]
	s_waitcnt vmcnt(10) lgkmcnt(10)
	v_mul_f64 v[100:101], v[54:55], v[6:7]
	v_mul_f64 v[6:7], v[52:53], v[6:7]
	;; [unrolled: 3-line block ×9, first 2 shown]
	s_waitcnt vmcnt(2)
	v_mul_f64 v[117:118], v[82:83], v[38:39]
	v_mul_f64 v[38:39], v[80:81], v[38:39]
	v_fma_f64 v[48:49], v[48:49], v[0:1], v[86:87]
	v_fma_f64 v[0:1], v[50:51], v[0:1], -v[2:3]
	v_fma_f64 v[2:3], v[52:53], v[4:5], v[100:101]
	v_fma_f64 v[4:5], v[54:55], v[4:5], -v[6:7]
	;; [unrolled: 2-line block ×4, first 2 shown]
	s_waitcnt vmcnt(1) lgkmcnt(1)
	v_mul_f64 v[14:15], v[94:95], v[42:43]
	v_mul_f64 v[42:43], v[92:93], v[42:43]
	s_waitcnt vmcnt(0) lgkmcnt(0)
	v_mul_f64 v[50:51], v[98:99], v[46:47]
	v_mul_f64 v[46:47], v[96:97], v[46:47]
	v_fma_f64 v[52:53], v[64:65], v[16:17], v[107:108]
	v_fma_f64 v[16:17], v[66:67], v[16:17], -v[18:19]
	v_fma_f64 v[18:19], v[68:69], v[20:21], v[109:110]
	v_fma_f64 v[20:21], v[70:71], v[20:21], -v[22:23]
	;; [unrolled: 2-line block ×6, first 2 shown]
	v_add_f64 v[38:39], v[48:49], v[6:7]
	v_add_f64 v[54:55], v[0:1], v[8:9]
	;; [unrolled: 1-line block ×4, first 2 shown]
	v_fma_f64 v[14:15], v[92:93], v[40:41], v[14:15]
	v_fma_f64 v[40:41], v[94:95], v[40:41], -v[42:43]
	v_fma_f64 v[42:43], v[96:97], v[44:45], v[50:51]
	v_fma_f64 v[44:45], v[98:99], v[44:45], -v[46:47]
	v_add_f64 v[10:11], v[2:3], -v[10:11]
	v_add_f64 v[12:13], v[4:5], -v[12:13]
	v_add_f64 v[8:9], v[0:1], -v[8:9]
	v_add_f64 v[46:47], v[52:53], v[22:23]
	v_add_f64 v[50:51], v[16:17], v[24:25]
	;; [unrolled: 1-line block ×4, first 2 shown]
	v_add_f64 v[18:19], v[18:19], -v[26:27]
	v_add_f64 v[20:21], v[20:21], -v[28:29]
	v_add_f64 v[64:65], v[30:31], v[34:35]
	v_add_f64 v[66:67], v[32:33], v[36:37]
	v_add_f64 v[30:31], v[34:35], -v[30:31]
	v_add_f64 v[32:33], v[36:37], -v[32:33]
	;; [unrolled: 1-line block ×5, first 2 shown]
	v_add_f64 v[0:1], v[56:57], v[38:39]
	v_add_f64 v[2:3], v[58:59], v[54:55]
	;; [unrolled: 1-line block ×4, first 2 shown]
	v_add_f64 v[14:15], v[42:43], -v[14:15]
	v_add_f64 v[26:27], v[44:45], -v[40:41]
	;; [unrolled: 1-line block ×3, first 2 shown]
	v_add_f64 v[24:25], v[60:61], v[46:47]
	v_add_f64 v[28:29], v[62:63], v[50:51]
	v_add_f64 v[36:37], v[38:39], -v[64:65]
	v_add_f64 v[40:41], v[54:55], -v[66:67]
	;; [unrolled: 1-line block ×11, first 2 shown]
	v_add_f64 v[10:11], v[30:31], v[10:11]
	v_add_f64 v[12:13], v[32:33], v[12:13]
	v_add_f64 v[30:31], v[34:35], -v[30:31]
	v_add_f64 v[32:33], v[8:9], -v[32:33]
	v_add_f64 v[64:65], v[64:65], v[0:1]
	v_add_f64 v[66:67], v[66:67], v[2:3]
	v_add_f64 v[72:73], v[46:47], -v[4:5]
	v_add_f64 v[74:75], v[50:51], -v[6:7]
	;; [unrolled: 1-line block ×6, first 2 shown]
	v_add_f64 v[18:19], v[14:15], v[18:19]
	v_add_f64 v[20:21], v[26:27], v[20:21]
	;; [unrolled: 1-line block ×4, first 2 shown]
	ds_load_b128 v[0:3], v102
	ds_load_b128 v[4:7], v85 offset:208
	v_mul_f64 v[92:93], v[70:71], s[6:7]
	v_mul_f64 v[36:37], v[36:37], s[0:1]
	;; [unrolled: 1-line block ×7, first 2 shown]
	v_add_f64 v[14:15], v[22:23], -v[14:15]
	v_add_f64 v[26:27], v[16:17], -v[26:27]
	v_mul_f64 v[90:91], v[68:69], s[6:7]
	v_mul_f64 v[94:95], v[80:81], s[6:7]
	;; [unrolled: 1-line block ×3, first 2 shown]
	v_add_f64 v[46:47], v[60:61], -v[46:47]
	v_add_f64 v[50:51], v[62:63], -v[50:51]
	v_add_f64 v[10:11], v[10:11], v[34:35]
	v_add_f64 v[8:9], v[12:13], v[8:9]
	s_waitcnt lgkmcnt(0)
	s_barrier
	buffer_gl0_inv
	v_add_f64 v[0:1], v[0:1], v[64:65]
	v_add_f64 v[2:3], v[2:3], v[66:67]
	v_mul_f64 v[72:73], v[72:73], s[0:1]
	v_mul_f64 v[74:75], v[74:75], s[0:1]
	;; [unrolled: 1-line block ×6, first 2 shown]
	s_mov_b32 s0, 0x5476071b
	s_mov_b32 s1, 0x3fe77f67
	v_add_f64 v[4:5], v[4:5], v[24:25]
	v_add_f64 v[6:7], v[6:7], v[28:29]
	s_mov_b32 s5, 0xbfe77f67
	s_mov_b32 s4, s0
	v_add_f64 v[12:13], v[18:19], v[22:23]
	v_add_f64 v[16:17], v[20:21], v[16:17]
	v_fma_f64 v[18:19], v[42:43], s[2:3], v[36:37]
	v_fma_f64 v[20:21], v[44:45], s[2:3], v[40:41]
	v_fma_f64 v[22:23], v[38:39], s[0:1], -v[56:57]
	v_fma_f64 v[34:35], v[54:55], s[0:1], -v[58:59]
	v_fma_f64 v[42:43], v[30:31], s[12:13], v[48:49]
	v_fma_f64 v[44:45], v[32:33], s[12:13], v[52:53]
	v_fma_f64 v[32:33], v[32:33], s[14:15], -v[92:93]
	v_fma_f64 v[36:37], v[38:39], s[4:5], -v[36:37]
	;; [unrolled: 1-line block ×6, first 2 shown]
	v_fma_f64 v[56:57], v[64:65], s[10:11], v[0:1]
	v_fma_f64 v[58:59], v[66:67], s[10:11], v[2:3]
	;; [unrolled: 1-line block ×6, first 2 shown]
	v_fma_f64 v[68:69], v[80:81], s[6:7], -v[76:77]
	v_fma_f64 v[70:71], v[82:83], s[6:7], -v[78:79]
	;; [unrolled: 1-line block ×4, first 2 shown]
	v_fma_f64 v[24:25], v[24:25], s[10:11], v[4:5]
	v_fma_f64 v[28:29], v[28:29], s[10:11], v[6:7]
	v_fma_f64 v[72:73], v[46:47], s[4:5], -v[72:73]
	v_fma_f64 v[74:75], v[50:51], s[4:5], -v[74:75]
	;; [unrolled: 1-line block ×4, first 2 shown]
	s_mov_b32 s0, 0x37c3f68c
	s_mov_b32 s1, 0xbfdc38aa
	s_delay_alu instid0(SALU_CYCLE_1)
	v_fma_f64 v[42:43], v[10:11], s[0:1], v[42:43]
	v_fma_f64 v[44:45], v[8:9], s[0:1], v[44:45]
	v_fma_f64 v[32:33], v[8:9], s[0:1], v[32:33]
	v_fma_f64 v[30:31], v[10:11], s[0:1], v[30:31]
	v_fma_f64 v[48:49], v[10:11], s[0:1], v[48:49]
	v_fma_f64 v[52:53], v[8:9], s[0:1], v[52:53]
	v_add_f64 v[60:61], v[18:19], v[56:57]
	v_add_f64 v[62:63], v[20:21], v[58:59]
	;; [unrolled: 1-line block ×6, first 2 shown]
	v_fma_f64 v[56:57], v[12:13], s[0:1], v[64:65]
	v_fma_f64 v[58:59], v[16:17], s[0:1], v[66:67]
	;; [unrolled: 1-line block ×6, first 2 shown]
	v_add_f64 v[76:77], v[40:41], v[24:25]
	v_add_f64 v[54:55], v[54:55], v[28:29]
	;; [unrolled: 1-line block ×7, first 2 shown]
	v_add_f64 v[10:11], v[62:63], -v[42:43]
	v_add_f64 v[12:13], v[32:33], v[36:37]
	v_add_f64 v[24:25], v[36:37], -v[32:33]
	v_add_f64 v[14:15], v[38:39], -v[30:31]
	v_add_f64 v[26:27], v[30:31], v[38:39]
	v_add_f64 v[16:17], v[20:21], -v[52:53]
	v_add_f64 v[18:19], v[48:49], v[22:23]
	v_add_f64 v[30:31], v[42:43], v[62:63]
	;; [unrolled: 1-line block ×3, first 2 shown]
	v_add_f64 v[22:23], v[22:23], -v[48:49]
	v_add_f64 v[28:29], v[60:61], -v[44:45]
	v_add_f64 v[32:33], v[58:59], v[76:77]
	v_add_f64 v[34:35], v[54:55], -v[56:57]
	v_add_f64 v[36:37], v[70:71], v[72:73]
	v_add_f64 v[38:39], v[74:75], -v[68:69]
	v_add_f64 v[40:41], v[46:47], -v[66:67]
	v_add_f64 v[42:43], v[64:65], v[50:51]
	v_add_f64 v[44:45], v[66:67], v[46:47]
	v_add_f64 v[46:47], v[50:51], -v[64:65]
	v_add_f64 v[48:49], v[72:73], -v[70:71]
	v_add_f64 v[50:51], v[68:69], v[74:75]
	v_add_f64 v[52:53], v[76:77], -v[58:59]
	v_add_f64 v[54:55], v[56:57], v[54:55]
	ds_store_b128 v85, v[0:3]
	ds_store_b128 v85, v[4:7] offset:208
	ds_store_b128 v85, v[8:11] offset:416
	;; [unrolled: 1-line block ×13, first 2 shown]
	s_waitcnt lgkmcnt(0)
	s_barrier
	buffer_gl0_inv
	s_and_saveexec_b32 s0, vcc_lo
	s_cbranch_execz .LBB0_21
; %bb.20:
	scratch_load_b64 v[0:1], off, off offset:8 ; 8-byte Folded Reload
	v_dual_mov_b32 v85, 0 :: v_dual_add_nc_u32 v8, 13, v84
	v_lshl_add_u32 v34, v84, 4, v255
	v_add_nc_u32_e32 v10, 26, v84
	s_delay_alu instid0(VALU_DEP_3) | instskip(SKIP_3) | instid1(VALU_DEP_4)
	v_dual_mov_b32 v9, v85 :: v_dual_add_nc_u32 v22, 39, v84
	v_mov_b32_e32 v11, v85
	v_dual_mov_b32 v23, v85 :: v_dual_add_nc_u32 v24, 52, v84
	v_mov_b32_e32 v25, v85
	v_lshlrev_b64 v[18:19], 4, v[8:9]
	s_delay_alu instid0(VALU_DEP_4) | instskip(NEXT) | instid1(VALU_DEP_4)
	v_lshlrev_b64 v[20:21], 4, v[10:11]
	v_lshlrev_b64 v[22:23], 4, v[22:23]
	s_waitcnt vmcnt(0)
	v_add_co_u32 v36, vcc_lo, s8, v0
	v_add_co_ci_u32_e32 v37, vcc_lo, s9, v1, vcc_lo
	v_lshlrev_b64 v[0:1], 4, v[84:85]
	s_delay_alu instid0(VALU_DEP_1) | instskip(NEXT) | instid1(VALU_DEP_2)
	v_add_co_u32 v16, vcc_lo, v36, v0
	v_add_co_ci_u32_e32 v17, vcc_lo, v37, v1, vcc_lo
	ds_load_b128 v[0:3], v34
	ds_load_b128 v[4:7], v34 offset:208
	ds_load_b128 v[8:11], v34 offset:416
	;; [unrolled: 1-line block ×3, first 2 shown]
	v_add_co_u32 v18, vcc_lo, v36, v18
	v_add_co_ci_u32_e32 v19, vcc_lo, v37, v19, vcc_lo
	v_add_co_u32 v20, vcc_lo, v36, v20
	v_add_co_ci_u32_e32 v21, vcc_lo, v37, v21, vcc_lo
	;; [unrolled: 2-line block ×3, first 2 shown]
	s_waitcnt lgkmcnt(3)
	global_store_b128 v[16:17], v[0:3], off
	s_waitcnt lgkmcnt(2)
	global_store_b128 v[18:19], v[4:7], off
	;; [unrolled: 2-line block ×4, first 2 shown]
	v_add_nc_u32_e32 v8, 0x41, v84
	v_lshlrev_b64 v[0:1], 4, v[24:25]
	v_dual_mov_b32 v9, v85 :: v_dual_add_nc_u32 v10, 0x4e, v84
	v_dual_mov_b32 v11, v85 :: v_dual_add_nc_u32 v22, 0x5b, v84
	v_dual_mov_b32 v23, v85 :: v_dual_add_nc_u32 v24, 0x68, v84
	s_delay_alu instid0(VALU_DEP_4)
	v_add_co_u32 v16, vcc_lo, v36, v0
	v_add_co_ci_u32_e32 v17, vcc_lo, v37, v1, vcc_lo
	ds_load_b128 v[0:3], v34 offset:832
	ds_load_b128 v[4:7], v34 offset:1040
	v_lshlrev_b64 v[18:19], 4, v[8:9]
	v_lshlrev_b64 v[20:21], 4, v[10:11]
	ds_load_b128 v[8:11], v34 offset:1248
	ds_load_b128 v[12:15], v34 offset:1456
	v_lshlrev_b64 v[22:23], 4, v[22:23]
	v_add_co_u32 v18, vcc_lo, v36, v18
	v_add_co_ci_u32_e32 v19, vcc_lo, v37, v19, vcc_lo
	v_add_co_u32 v20, vcc_lo, v36, v20
	v_add_co_ci_u32_e32 v21, vcc_lo, v37, v21, vcc_lo
	v_add_co_u32 v22, vcc_lo, v36, v22
	s_waitcnt lgkmcnt(3)
	global_store_b128 v[16:17], v[0:3], off
	s_waitcnt lgkmcnt(2)
	global_store_b128 v[18:19], v[4:7], off
	v_dual_mov_b32 v3, v85 :: v_dual_add_nc_u32 v2, 0x75, v84
	v_add_co_ci_u32_e32 v23, vcc_lo, v37, v23, vcc_lo
	v_lshlrev_b64 v[0:1], 4, v[24:25]
	s_waitcnt lgkmcnt(1)
	global_store_b128 v[20:21], v[8:11], off
	s_waitcnt lgkmcnt(0)
	global_store_b128 v[22:23], v[12:15], off
	v_lshlrev_b64 v[8:9], 4, v[2:3]
	v_dual_mov_b32 v11, v85 :: v_dual_add_nc_u32 v10, 0x82, v84
	v_add_co_u32 v24, vcc_lo, v36, v0
	v_add_co_ci_u32_e32 v25, vcc_lo, v37, v1, vcc_lo
	s_delay_alu instid0(VALU_DEP_4)
	v_add_co_u32 v26, vcc_lo, v36, v8
	v_add_co_ci_u32_e32 v27, vcc_lo, v37, v9, vcc_lo
	v_lshlrev_b64 v[8:9], 4, v[10:11]
	v_dual_mov_b32 v17, v85 :: v_dual_add_nc_u32 v16, 0x8f, v84
	v_dual_mov_b32 v19, v85 :: v_dual_add_nc_u32 v18, 0x9c, v84
	ds_load_b128 v[0:3], v34 offset:1664
	ds_load_b128 v[4:7], v34 offset:1872
	v_add_co_u32 v28, vcc_lo, v36, v8
	v_add_co_ci_u32_e32 v29, vcc_lo, v37, v9, vcc_lo
	ds_load_b128 v[8:11], v34 offset:2080
	ds_load_b128 v[12:15], v34 offset:2288
	v_lshlrev_b64 v[30:31], 4, v[16:17]
	v_lshlrev_b64 v[32:33], 4, v[18:19]
	ds_load_b128 v[16:19], v34 offset:2496
	ds_load_b128 v[20:23], v34 offset:2704
	v_add_nc_u32_e32 v84, 0xa9, v84
	v_add_co_u32 v30, vcc_lo, v36, v30
	s_delay_alu instid0(VALU_DEP_2) | instskip(SKIP_3) | instid1(VALU_DEP_4)
	v_lshlrev_b64 v[34:35], 4, v[84:85]
	v_add_co_ci_u32_e32 v31, vcc_lo, v37, v31, vcc_lo
	v_add_co_u32 v32, vcc_lo, v36, v32
	v_add_co_ci_u32_e32 v33, vcc_lo, v37, v33, vcc_lo
	v_add_co_u32 v34, vcc_lo, v36, v34
	v_add_co_ci_u32_e32 v35, vcc_lo, v37, v35, vcc_lo
	s_waitcnt lgkmcnt(5)
	global_store_b128 v[24:25], v[0:3], off
	s_waitcnt lgkmcnt(4)
	global_store_b128 v[26:27], v[4:7], off
	;; [unrolled: 2-line block ×6, first 2 shown]
.LBB0_21:
	s_nop 0
	s_sendmsg sendmsg(MSG_DEALLOC_VGPRS)
	s_endpgm
	.section	.rodata,"a",@progbits
	.p2align	6, 0x0
	.amdhsa_kernel fft_rtc_back_len182_factors_13_2_7_wgs_52_tpt_13_dp_ip_CI_unitstride_sbrr_C2R_dirReg
		.amdhsa_group_segment_fixed_size 0
		.amdhsa_private_segment_fixed_size 148
		.amdhsa_kernarg_size 88
		.amdhsa_user_sgpr_count 15
		.amdhsa_user_sgpr_dispatch_ptr 0
		.amdhsa_user_sgpr_queue_ptr 0
		.amdhsa_user_sgpr_kernarg_segment_ptr 1
		.amdhsa_user_sgpr_dispatch_id 0
		.amdhsa_user_sgpr_private_segment_size 0
		.amdhsa_wavefront_size32 1
		.amdhsa_uses_dynamic_stack 0
		.amdhsa_enable_private_segment 1
		.amdhsa_system_sgpr_workgroup_id_x 1
		.amdhsa_system_sgpr_workgroup_id_y 0
		.amdhsa_system_sgpr_workgroup_id_z 0
		.amdhsa_system_sgpr_workgroup_info 0
		.amdhsa_system_vgpr_workitem_id 0
		.amdhsa_next_free_vgpr 256
		.amdhsa_next_free_sgpr 44
		.amdhsa_reserve_vcc 1
		.amdhsa_float_round_mode_32 0
		.amdhsa_float_round_mode_16_64 0
		.amdhsa_float_denorm_mode_32 3
		.amdhsa_float_denorm_mode_16_64 3
		.amdhsa_dx10_clamp 1
		.amdhsa_ieee_mode 1
		.amdhsa_fp16_overflow 0
		.amdhsa_workgroup_processor_mode 1
		.amdhsa_memory_ordered 1
		.amdhsa_forward_progress 0
		.amdhsa_shared_vgpr_count 0
		.amdhsa_exception_fp_ieee_invalid_op 0
		.amdhsa_exception_fp_denorm_src 0
		.amdhsa_exception_fp_ieee_div_zero 0
		.amdhsa_exception_fp_ieee_overflow 0
		.amdhsa_exception_fp_ieee_underflow 0
		.amdhsa_exception_fp_ieee_inexact 0
		.amdhsa_exception_int_div_zero 0
	.end_amdhsa_kernel
	.text
.Lfunc_end0:
	.size	fft_rtc_back_len182_factors_13_2_7_wgs_52_tpt_13_dp_ip_CI_unitstride_sbrr_C2R_dirReg, .Lfunc_end0-fft_rtc_back_len182_factors_13_2_7_wgs_52_tpt_13_dp_ip_CI_unitstride_sbrr_C2R_dirReg
                                        ; -- End function
	.section	.AMDGPU.csdata,"",@progbits
; Kernel info:
; codeLenInByte = 14856
; NumSgprs: 46
; NumVgprs: 256
; ScratchSize: 148
; MemoryBound: 0
; FloatMode: 240
; IeeeMode: 1
; LDSByteSize: 0 bytes/workgroup (compile time only)
; SGPRBlocks: 5
; VGPRBlocks: 31
; NumSGPRsForWavesPerEU: 46
; NumVGPRsForWavesPerEU: 256
; Occupancy: 5
; WaveLimiterHint : 1
; COMPUTE_PGM_RSRC2:SCRATCH_EN: 1
; COMPUTE_PGM_RSRC2:USER_SGPR: 15
; COMPUTE_PGM_RSRC2:TRAP_HANDLER: 0
; COMPUTE_PGM_RSRC2:TGID_X_EN: 1
; COMPUTE_PGM_RSRC2:TGID_Y_EN: 0
; COMPUTE_PGM_RSRC2:TGID_Z_EN: 0
; COMPUTE_PGM_RSRC2:TIDIG_COMP_CNT: 0
	.text
	.p2alignl 7, 3214868480
	.fill 96, 4, 3214868480
	.type	__hip_cuid_3c74511000a708a6,@object ; @__hip_cuid_3c74511000a708a6
	.section	.bss,"aw",@nobits
	.globl	__hip_cuid_3c74511000a708a6
__hip_cuid_3c74511000a708a6:
	.byte	0                               ; 0x0
	.size	__hip_cuid_3c74511000a708a6, 1

	.ident	"AMD clang version 19.0.0git (https://github.com/RadeonOpenCompute/llvm-project roc-6.4.0 25133 c7fe45cf4b819c5991fe208aaa96edf142730f1d)"
	.section	".note.GNU-stack","",@progbits
	.addrsig
	.addrsig_sym __hip_cuid_3c74511000a708a6
	.amdgpu_metadata
---
amdhsa.kernels:
  - .args:
      - .actual_access:  read_only
        .address_space:  global
        .offset:         0
        .size:           8
        .value_kind:     global_buffer
      - .offset:         8
        .size:           8
        .value_kind:     by_value
      - .actual_access:  read_only
        .address_space:  global
        .offset:         16
        .size:           8
        .value_kind:     global_buffer
      - .actual_access:  read_only
        .address_space:  global
        .offset:         24
        .size:           8
        .value_kind:     global_buffer
      - .offset:         32
        .size:           8
        .value_kind:     by_value
      - .actual_access:  read_only
        .address_space:  global
        .offset:         40
        .size:           8
        .value_kind:     global_buffer
      - .actual_access:  read_only
        .address_space:  global
        .offset:         48
        .size:           8
        .value_kind:     global_buffer
      - .offset:         56
        .size:           4
        .value_kind:     by_value
      - .actual_access:  read_only
        .address_space:  global
        .offset:         64
        .size:           8
        .value_kind:     global_buffer
      - .actual_access:  read_only
        .address_space:  global
        .offset:         72
        .size:           8
        .value_kind:     global_buffer
      - .address_space:  global
        .offset:         80
        .size:           8
        .value_kind:     global_buffer
    .group_segment_fixed_size: 0
    .kernarg_segment_align: 8
    .kernarg_segment_size: 88
    .language:       OpenCL C
    .language_version:
      - 2
      - 0
    .max_flat_workgroup_size: 52
    .name:           fft_rtc_back_len182_factors_13_2_7_wgs_52_tpt_13_dp_ip_CI_unitstride_sbrr_C2R_dirReg
    .private_segment_fixed_size: 148
    .sgpr_count:     46
    .sgpr_spill_count: 0
    .symbol:         fft_rtc_back_len182_factors_13_2_7_wgs_52_tpt_13_dp_ip_CI_unitstride_sbrr_C2R_dirReg.kd
    .uniform_work_group_size: 1
    .uses_dynamic_stack: false
    .vgpr_count:     256
    .vgpr_spill_count: 36
    .wavefront_size: 32
    .workgroup_processor_mode: 1
amdhsa.target:   amdgcn-amd-amdhsa--gfx1100
amdhsa.version:
  - 1
  - 2
...

	.end_amdgpu_metadata
